;; amdgpu-corpus repo=LLNL/RAJAPerf kind=compiled arch=gfx1100 opt=O3
	.text
	.amdgcn_target "amdgcn-amd-amdhsa--gfx1100"
	.amdhsa_code_object_version 6
	.section	.text._ZN7rocprim6detail19block_reduce_kernelILb0ELb1ELj1ENS0_21wrapped_reduce_configINS_14default_configEdEEdPdS5_dNS_4plusIdEEEEvT4_mT5_T6_T7_,"axG",@progbits,_ZN7rocprim6detail19block_reduce_kernelILb0ELb1ELj1ENS0_21wrapped_reduce_configINS_14default_configEdEEdPdS5_dNS_4plusIdEEEEvT4_mT5_T6_T7_,comdat
	.protected	_ZN7rocprim6detail19block_reduce_kernelILb0ELb1ELj1ENS0_21wrapped_reduce_configINS_14default_configEdEEdPdS5_dNS_4plusIdEEEEvT4_mT5_T6_T7_ ; -- Begin function _ZN7rocprim6detail19block_reduce_kernelILb0ELb1ELj1ENS0_21wrapped_reduce_configINS_14default_configEdEEdPdS5_dNS_4plusIdEEEEvT4_mT5_T6_T7_
	.globl	_ZN7rocprim6detail19block_reduce_kernelILb0ELb1ELj1ENS0_21wrapped_reduce_configINS_14default_configEdEEdPdS5_dNS_4plusIdEEEEvT4_mT5_T6_T7_
	.p2align	8
	.type	_ZN7rocprim6detail19block_reduce_kernelILb0ELb1ELj1ENS0_21wrapped_reduce_configINS_14default_configEdEEdPdS5_dNS_4plusIdEEEEvT4_mT5_T6_T7_,@function
_ZN7rocprim6detail19block_reduce_kernelILb0ELb1ELj1ENS0_21wrapped_reduce_configINS_14default_configEdEEdPdS5_dNS_4plusIdEEEEvT4_mT5_T6_T7_: ; @_ZN7rocprim6detail19block_reduce_kernelILb0ELb1ELj1ENS0_21wrapped_reduce_configINS_14default_configEdEEdPdS5_dNS_4plusIdEEEEvT4_mT5_T6_T7_
; %bb.0:
	s_load_b256 s[4:11], s[0:1], 0x0
	s_mov_b32 s1, 0
	s_lshl_b32 s0, s15, 10
	v_lshlrev_b32_e32 v1, 3, v0
	s_lshl_b64 s[2:3], s[0:1], 3
	s_mov_b32 s12, s15
	s_mov_b32 s13, s1
	v_mbcnt_lo_u32_b32 v11, -1, 0
	s_waitcnt lgkmcnt(0)
	s_lshr_b64 s[14:15], s[6:7], 10
	s_add_u32 s1, s4, s2
	s_addc_u32 s2, s5, s3
	v_add_co_u32 v9, s1, s1, v1
	s_delay_alu instid0(VALU_DEP_1)
	v_add_co_ci_u32_e64 v10, null, s2, 0, s1
	s_cmp_lg_u64 s[14:15], s[12:13]
	s_cbranch_scc0 .LBB0_6
; %bb.1:
	s_clause 0x1
	global_load_b64 v[1:2], v[9:10], off
	global_load_b64 v[3:4], v[9:10], off offset:2048
	v_add_co_u32 v5, vcc_lo, 0x1000, v9
	v_add_co_ci_u32_e32 v6, vcc_lo, 0, v10, vcc_lo
	s_mov_b32 s1, exec_lo
	s_clause 0x1
	global_load_b64 v[7:8], v[5:6], off
	global_load_b64 v[5:6], v[5:6], off offset:2048
	s_waitcnt vmcnt(2)
	v_add_f64 v[1:2], v[1:2], v[3:4]
	s_waitcnt vmcnt(1)
	s_delay_alu instid0(VALU_DEP_1) | instskip(SKIP_1) | instid1(VALU_DEP_1)
	v_add_f64 v[1:2], v[1:2], v[7:8]
	s_waitcnt vmcnt(0)
	v_add_f64 v[1:2], v[1:2], v[5:6]
	s_delay_alu instid0(VALU_DEP_1) | instskip(NEXT) | instid1(VALU_DEP_2)
	v_mov_b32_dpp v3, v1 quad_perm:[1,0,3,2] row_mask:0xf bank_mask:0xf
	v_mov_b32_dpp v4, v2 quad_perm:[1,0,3,2] row_mask:0xf bank_mask:0xf
	s_delay_alu instid0(VALU_DEP_1) | instskip(NEXT) | instid1(VALU_DEP_1)
	v_add_f64 v[1:2], v[1:2], v[3:4]
	v_mov_b32_dpp v3, v1 quad_perm:[2,3,0,1] row_mask:0xf bank_mask:0xf
	s_delay_alu instid0(VALU_DEP_2) | instskip(NEXT) | instid1(VALU_DEP_1)
	v_mov_b32_dpp v4, v2 quad_perm:[2,3,0,1] row_mask:0xf bank_mask:0xf
	v_add_f64 v[1:2], v[1:2], v[3:4]
	s_delay_alu instid0(VALU_DEP_1) | instskip(NEXT) | instid1(VALU_DEP_2)
	v_mov_b32_dpp v3, v1 row_ror:4 row_mask:0xf bank_mask:0xf
	v_mov_b32_dpp v4, v2 row_ror:4 row_mask:0xf bank_mask:0xf
	s_delay_alu instid0(VALU_DEP_1) | instskip(NEXT) | instid1(VALU_DEP_1)
	v_add_f64 v[1:2], v[1:2], v[3:4]
	v_mov_b32_dpp v3, v1 row_ror:8 row_mask:0xf bank_mask:0xf
	s_delay_alu instid0(VALU_DEP_2) | instskip(NEXT) | instid1(VALU_DEP_1)
	v_mov_b32_dpp v4, v2 row_ror:8 row_mask:0xf bank_mask:0xf
	v_add_f64 v[1:2], v[1:2], v[3:4]
	ds_swizzle_b32 v3, v1 offset:swizzle(BROADCAST,32,15)
	ds_swizzle_b32 v4, v2 offset:swizzle(BROADCAST,32,15)
	s_waitcnt lgkmcnt(0)
	v_add_f64 v[1:2], v[1:2], v[3:4]
	v_mov_b32_e32 v3, 0
	ds_bpermute_b32 v1, v3, v1 offset:124
	ds_bpermute_b32 v2, v3, v2 offset:124
	v_cmpx_eq_u32_e32 0, v11
	s_cbranch_execz .LBB0_3
; %bb.2:
	v_lshrrev_b32_e32 v3, 2, v0
	s_delay_alu instid0(VALU_DEP_1)
	v_and_b32_e32 v3, 56, v3
	s_waitcnt lgkmcnt(0)
	ds_store_b64 v3, v[1:2]
.LBB0_3:
	s_or_b32 exec_lo, exec_lo, s1
	s_delay_alu instid0(SALU_CYCLE_1)
	s_mov_b32 s1, exec_lo
	s_waitcnt lgkmcnt(0)
	s_barrier
	buffer_gl0_inv
	v_cmpx_gt_u32_e32 32, v0
	s_cbranch_execz .LBB0_5
; %bb.4:
	v_and_b32_e32 v5, 7, v11
	s_delay_alu instid0(VALU_DEP_1) | instskip(SKIP_4) | instid1(VALU_DEP_2)
	v_lshlrev_b32_e32 v1, 3, v5
	v_cmp_ne_u32_e32 vcc_lo, 7, v5
	ds_load_b64 v[1:2], v1
	v_add_co_ci_u32_e32 v3, vcc_lo, 0, v11, vcc_lo
	v_cmp_gt_u32_e32 vcc_lo, 6, v5
	v_lshlrev_b32_e32 v4, 2, v3
	s_waitcnt lgkmcnt(0)
	ds_bpermute_b32 v3, v4, v1
	ds_bpermute_b32 v4, v4, v2
	s_waitcnt lgkmcnt(0)
	v_add_f64 v[1:2], v[1:2], v[3:4]
	v_cndmask_b32_e64 v3, 0, 1, vcc_lo
	v_cmp_gt_u32_e32 vcc_lo, 4, v5
	s_delay_alu instid0(VALU_DEP_2) | instskip(NEXT) | instid1(VALU_DEP_1)
	v_lshlrev_b32_e32 v3, 1, v3
	v_add_lshl_u32 v4, v3, v11, 2
	ds_bpermute_b32 v3, v4, v1
	ds_bpermute_b32 v4, v4, v2
	s_waitcnt lgkmcnt(0)
	v_add_f64 v[1:2], v[1:2], v[3:4]
	v_cndmask_b32_e64 v3, 0, 1, vcc_lo
	s_delay_alu instid0(VALU_DEP_1) | instskip(NEXT) | instid1(VALU_DEP_1)
	v_lshlrev_b32_e32 v3, 2, v3
	v_add_lshl_u32 v4, v3, v11, 2
	ds_bpermute_b32 v3, v4, v1
	ds_bpermute_b32 v4, v4, v2
	s_waitcnt lgkmcnt(0)
	v_add_f64 v[1:2], v[1:2], v[3:4]
.LBB0_5:
	s_or_b32 exec_lo, exec_lo, s1
	s_branch .LBB0_36
.LBB0_6:
                                        ; implicit-def: $vgpr1_vgpr2
	s_cbranch_execz .LBB0_36
; %bb.7:
	s_sub_i32 s3, s6, s0
	s_mov_b32 s0, exec_lo
                                        ; implicit-def: $vgpr1_vgpr2_vgpr3_vgpr4_vgpr5_vgpr6_vgpr7_vgpr8
	v_cmpx_gt_u32_e64 s3, v0
	s_cbranch_execz .LBB0_9
; %bb.8:
	global_load_b64 v[1:2], v[9:10], off
.LBB0_9:
	s_or_b32 exec_lo, exec_lo, s0
	v_or_b32_e32 v12, 0x100, v0
	s_delay_alu instid0(VALU_DEP_1)
	v_cmp_gt_u32_e32 vcc_lo, s3, v12
	s_and_saveexec_b32 s0, vcc_lo
	s_cbranch_execz .LBB0_11
; %bb.10:
	global_load_b64 v[3:4], v[9:10], off offset:2048
.LBB0_11:
	s_or_b32 exec_lo, exec_lo, s0
	v_or_b32_e32 v12, 0x200, v0
	s_delay_alu instid0(VALU_DEP_1) | instskip(NEXT) | instid1(VALU_DEP_1)
	v_cmp_gt_u32_e64 s0, s3, v12
	s_and_saveexec_b32 s2, s0
	s_cbranch_execz .LBB0_13
; %bb.12:
	v_add_co_u32 v5, s1, 0x1000, v9
	s_delay_alu instid0(VALU_DEP_1)
	v_add_co_ci_u32_e64 v6, s1, 0, v10, s1
	global_load_b64 v[5:6], v[5:6], off
.LBB0_13:
	s_or_b32 exec_lo, exec_lo, s2
	v_or_b32_e32 v12, 0x300, v0
	s_delay_alu instid0(VALU_DEP_1) | instskip(NEXT) | instid1(VALU_DEP_1)
	v_cmp_gt_u32_e64 s1, s3, v12
	s_and_saveexec_b32 s4, s1
	s_cbranch_execz .LBB0_15
; %bb.14:
	v_add_co_u32 v7, s2, 0x1000, v9
	s_delay_alu instid0(VALU_DEP_1)
	v_add_co_ci_u32_e64 v8, s2, 0, v10, s2
	global_load_b64 v[7:8], v[7:8], off offset:2048
.LBB0_15:
	s_or_b32 exec_lo, exec_lo, s4
	s_waitcnt vmcnt(0)
	v_add_f64 v[3:4], v[1:2], v[3:4]
	s_delay_alu instid0(VALU_DEP_1) | instskip(SKIP_1) | instid1(VALU_DEP_2)
	v_dual_cndmask_b32 v2, v2, v4 :: v_dual_cndmask_b32 v1, v1, v3
	v_cmp_ne_u32_e32 vcc_lo, 31, v11
	v_add_f64 v[3:4], v[5:6], v[1:2]
	v_add_co_ci_u32_e32 v5, vcc_lo, 0, v11, vcc_lo
	v_add_nc_u32_e32 v6, 1, v11
	s_delay_alu instid0(VALU_DEP_2) | instskip(NEXT) | instid1(VALU_DEP_4)
	v_lshlrev_b32_e32 v5, 2, v5
	v_cndmask_b32_e64 v2, v2, v4, s0
	v_cndmask_b32_e64 v1, v1, v3, s0
	s_min_u32 s0, s3, 0x100
	s_delay_alu instid0(VALU_DEP_1) | instskip(NEXT) | instid1(VALU_DEP_1)
	v_add_f64 v[3:4], v[7:8], v[1:2]
	v_cndmask_b32_e64 v1, v1, v3, s1
	s_delay_alu instid0(VALU_DEP_2) | instskip(SKIP_4) | instid1(VALU_DEP_1)
	v_cndmask_b32_e64 v2, v2, v4, s1
	s_mov_b32 s1, exec_lo
	ds_bpermute_b32 v3, v5, v1
	ds_bpermute_b32 v4, v5, v2
	v_and_b32_e32 v5, 0xe0, v0
	v_sub_nc_u32_e64 v5, s0, v5 clamp
	s_delay_alu instid0(VALU_DEP_1)
	v_cmpx_lt_u32_e64 v6, v5
	s_cbranch_execz .LBB0_17
; %bb.16:
	s_waitcnt lgkmcnt(0)
	v_add_f64 v[1:2], v[1:2], v[3:4]
.LBB0_17:
	s_or_b32 exec_lo, exec_lo, s1
	v_cmp_gt_u32_e32 vcc_lo, 30, v11
	v_add_nc_u32_e32 v6, 2, v11
	s_mov_b32 s1, exec_lo
	s_waitcnt lgkmcnt(1)
	v_cndmask_b32_e64 v3, 0, 1, vcc_lo
	s_delay_alu instid0(VALU_DEP_1) | instskip(SKIP_1) | instid1(VALU_DEP_1)
	v_lshlrev_b32_e32 v3, 1, v3
	s_waitcnt lgkmcnt(0)
	v_add_lshl_u32 v4, v3, v11, 2
	ds_bpermute_b32 v3, v4, v1
	ds_bpermute_b32 v4, v4, v2
	v_cmpx_lt_u32_e64 v6, v5
	s_cbranch_execz .LBB0_19
; %bb.18:
	s_waitcnt lgkmcnt(0)
	v_add_f64 v[1:2], v[1:2], v[3:4]
.LBB0_19:
	s_or_b32 exec_lo, exec_lo, s1
	v_cmp_gt_u32_e32 vcc_lo, 28, v11
	v_add_nc_u32_e32 v6, 4, v11
	s_mov_b32 s1, exec_lo
	s_waitcnt lgkmcnt(1)
	v_cndmask_b32_e64 v3, 0, 1, vcc_lo
	s_delay_alu instid0(VALU_DEP_1) | instskip(SKIP_1) | instid1(VALU_DEP_1)
	v_lshlrev_b32_e32 v3, 2, v3
	s_waitcnt lgkmcnt(0)
	v_add_lshl_u32 v4, v3, v11, 2
	ds_bpermute_b32 v3, v4, v1
	ds_bpermute_b32 v4, v4, v2
	;; [unrolled: 18-line block ×4, first 2 shown]
	v_cmpx_lt_u32_e64 v6, v5
	s_cbranch_execz .LBB0_25
; %bb.24:
	s_waitcnt lgkmcnt(0)
	v_add_f64 v[1:2], v[1:2], v[3:4]
.LBB0_25:
	s_or_b32 exec_lo, exec_lo, s1
	s_delay_alu instid0(SALU_CYCLE_1)
	s_mov_b32 s1, exec_lo
	v_cmpx_eq_u32_e32 0, v11
	s_cbranch_execz .LBB0_27
; %bb.26:
	s_waitcnt lgkmcnt(1)
	v_lshrrev_b32_e32 v3, 2, v0
	s_delay_alu instid0(VALU_DEP_1)
	v_and_b32_e32 v3, 56, v3
	ds_store_b64 v3, v[1:2] offset:64
.LBB0_27:
	s_or_b32 exec_lo, exec_lo, s1
	s_delay_alu instid0(SALU_CYCLE_1)
	s_mov_b32 s1, exec_lo
	s_waitcnt lgkmcnt(0)
	s_barrier
	buffer_gl0_inv
	v_cmpx_gt_u32_e32 8, v0
	s_cbranch_execz .LBB0_35
; %bb.28:
	v_lshlrev_b32_e32 v1, 3, v11
	v_and_b32_e32 v5, 7, v11
	s_add_i32 s0, s0, 31
	s_mov_b32 s2, exec_lo
	s_lshr_b32 s0, s0, 5
	ds_load_b64 v[1:2], v1 offset:64
	v_cmp_ne_u32_e32 vcc_lo, 7, v5
	v_add_nc_u32_e32 v6, 1, v5
	v_add_co_ci_u32_e32 v3, vcc_lo, 0, v11, vcc_lo
	s_delay_alu instid0(VALU_DEP_1)
	v_lshlrev_b32_e32 v4, 2, v3
	s_waitcnt lgkmcnt(0)
	ds_bpermute_b32 v3, v4, v1
	ds_bpermute_b32 v4, v4, v2
	v_cmpx_gt_u32_e64 s0, v6
	s_cbranch_execz .LBB0_30
; %bb.29:
	s_waitcnt lgkmcnt(0)
	v_add_f64 v[1:2], v[1:2], v[3:4]
.LBB0_30:
	s_or_b32 exec_lo, exec_lo, s2
	v_cmp_gt_u32_e32 vcc_lo, 6, v5
	v_add_nc_u32_e32 v6, 2, v5
	s_mov_b32 s2, exec_lo
	s_waitcnt lgkmcnt(1)
	v_cndmask_b32_e64 v3, 0, 1, vcc_lo
	s_delay_alu instid0(VALU_DEP_1) | instskip(SKIP_1) | instid1(VALU_DEP_1)
	v_lshlrev_b32_e32 v3, 1, v3
	s_waitcnt lgkmcnt(0)
	v_add_lshl_u32 v4, v3, v11, 2
	ds_bpermute_b32 v3, v4, v1
	ds_bpermute_b32 v4, v4, v2
	v_cmpx_gt_u32_e64 s0, v6
	s_cbranch_execz .LBB0_32
; %bb.31:
	s_waitcnt lgkmcnt(0)
	v_add_f64 v[1:2], v[1:2], v[3:4]
.LBB0_32:
	s_or_b32 exec_lo, exec_lo, s2
	v_cmp_gt_u32_e32 vcc_lo, 4, v5
	v_add_nc_u32_e32 v5, 4, v5
	s_waitcnt lgkmcnt(1)
	v_cndmask_b32_e64 v3, 0, 1, vcc_lo
	s_delay_alu instid0(VALU_DEP_2) | instskip(NEXT) | instid1(VALU_DEP_2)
	v_cmp_gt_u32_e32 vcc_lo, s0, v5
	v_lshlrev_b32_e32 v3, 2, v3
	s_waitcnt lgkmcnt(0)
	s_delay_alu instid0(VALU_DEP_1)
	v_add_lshl_u32 v4, v3, v11, 2
	ds_bpermute_b32 v3, v4, v1
	ds_bpermute_b32 v4, v4, v2
	s_and_saveexec_b32 s0, vcc_lo
	s_cbranch_execz .LBB0_34
; %bb.33:
	s_waitcnt lgkmcnt(0)
	v_add_f64 v[1:2], v[1:2], v[3:4]
.LBB0_34:
	s_or_b32 exec_lo, exec_lo, s0
.LBB0_35:
	s_delay_alu instid0(SALU_CYCLE_1)
	s_or_b32 exec_lo, exec_lo, s1
.LBB0_36:
	s_delay_alu instid0(SALU_CYCLE_1)
	s_mov_b32 s0, exec_lo
	v_cmpx_eq_u32_e32 0, v0
	s_cbranch_execz .LBB0_38
; %bb.37:
	s_lshl_b64 s[0:1], s[12:13], 3
	v_mov_b32_e32 v0, 0
	s_add_u32 s0, s8, s0
	s_addc_u32 s1, s9, s1
	s_cmp_eq_u64 s[6:7], 0
	s_cselect_b32 s2, -1, 0
	s_delay_alu instid0(VALU_DEP_3) | instid1(SALU_CYCLE_1)
	v_cndmask_b32_e64 v2, v2, s11, s2
	s_delay_alu instid0(VALU_DEP_4)
	v_cndmask_b32_e64 v1, v1, s10, s2
	global_store_b64 v0, v[1:2], s[0:1]
.LBB0_38:
	s_nop 0
	s_sendmsg sendmsg(MSG_DEALLOC_VGPRS)
	s_endpgm
	.section	.rodata,"a",@progbits
	.p2align	6, 0x0
	.amdhsa_kernel _ZN7rocprim6detail19block_reduce_kernelILb0ELb1ELj1ENS0_21wrapped_reduce_configINS_14default_configEdEEdPdS5_dNS_4plusIdEEEEvT4_mT5_T6_T7_
		.amdhsa_group_segment_fixed_size 128
		.amdhsa_private_segment_fixed_size 0
		.amdhsa_kernarg_size 36
		.amdhsa_user_sgpr_count 15
		.amdhsa_user_sgpr_dispatch_ptr 0
		.amdhsa_user_sgpr_queue_ptr 0
		.amdhsa_user_sgpr_kernarg_segment_ptr 1
		.amdhsa_user_sgpr_dispatch_id 0
		.amdhsa_user_sgpr_private_segment_size 0
		.amdhsa_wavefront_size32 1
		.amdhsa_uses_dynamic_stack 0
		.amdhsa_enable_private_segment 0
		.amdhsa_system_sgpr_workgroup_id_x 1
		.amdhsa_system_sgpr_workgroup_id_y 0
		.amdhsa_system_sgpr_workgroup_id_z 0
		.amdhsa_system_sgpr_workgroup_info 0
		.amdhsa_system_vgpr_workitem_id 0
		.amdhsa_next_free_vgpr 13
		.amdhsa_next_free_sgpr 16
		.amdhsa_reserve_vcc 1
		.amdhsa_float_round_mode_32 0
		.amdhsa_float_round_mode_16_64 0
		.amdhsa_float_denorm_mode_32 3
		.amdhsa_float_denorm_mode_16_64 3
		.amdhsa_dx10_clamp 1
		.amdhsa_ieee_mode 1
		.amdhsa_fp16_overflow 0
		.amdhsa_workgroup_processor_mode 1
		.amdhsa_memory_ordered 1
		.amdhsa_forward_progress 0
		.amdhsa_shared_vgpr_count 0
		.amdhsa_exception_fp_ieee_invalid_op 0
		.amdhsa_exception_fp_denorm_src 0
		.amdhsa_exception_fp_ieee_div_zero 0
		.amdhsa_exception_fp_ieee_overflow 0
		.amdhsa_exception_fp_ieee_underflow 0
		.amdhsa_exception_fp_ieee_inexact 0
		.amdhsa_exception_int_div_zero 0
	.end_amdhsa_kernel
	.section	.text._ZN7rocprim6detail19block_reduce_kernelILb0ELb1ELj1ENS0_21wrapped_reduce_configINS_14default_configEdEEdPdS5_dNS_4plusIdEEEEvT4_mT5_T6_T7_,"axG",@progbits,_ZN7rocprim6detail19block_reduce_kernelILb0ELb1ELj1ENS0_21wrapped_reduce_configINS_14default_configEdEEdPdS5_dNS_4plusIdEEEEvT4_mT5_T6_T7_,comdat
.Lfunc_end0:
	.size	_ZN7rocprim6detail19block_reduce_kernelILb0ELb1ELj1ENS0_21wrapped_reduce_configINS_14default_configEdEEdPdS5_dNS_4plusIdEEEEvT4_mT5_T6_T7_, .Lfunc_end0-_ZN7rocprim6detail19block_reduce_kernelILb0ELb1ELj1ENS0_21wrapped_reduce_configINS_14default_configEdEEdPdS5_dNS_4plusIdEEEEvT4_mT5_T6_T7_
                                        ; -- End function
	.section	.AMDGPU.csdata,"",@progbits
; Kernel info:
; codeLenInByte = 1772
; NumSgprs: 18
; NumVgprs: 13
; ScratchSize: 0
; MemoryBound: 1
; FloatMode: 240
; IeeeMode: 1
; LDSByteSize: 128 bytes/workgroup (compile time only)
; SGPRBlocks: 2
; VGPRBlocks: 1
; NumSGPRsForWavesPerEU: 18
; NumVGPRsForWavesPerEU: 13
; Occupancy: 16
; WaveLimiterHint : 1
; COMPUTE_PGM_RSRC2:SCRATCH_EN: 0
; COMPUTE_PGM_RSRC2:USER_SGPR: 15
; COMPUTE_PGM_RSRC2:TRAP_HANDLER: 0
; COMPUTE_PGM_RSRC2:TGID_X_EN: 1
; COMPUTE_PGM_RSRC2:TGID_Y_EN: 0
; COMPUTE_PGM_RSRC2:TGID_Z_EN: 0
; COMPUTE_PGM_RSRC2:TIDIG_COMP_CNT: 0
	.section	.text._ZN7rocprim6detail19block_reduce_kernelILb1ELb1ELj2ENS0_21wrapped_reduce_configINS_14default_configEdEEdPdS5_dNS_4plusIdEEEEvT4_mT5_T6_T7_,"axG",@progbits,_ZN7rocprim6detail19block_reduce_kernelILb1ELb1ELj2ENS0_21wrapped_reduce_configINS_14default_configEdEEdPdS5_dNS_4plusIdEEEEvT4_mT5_T6_T7_,comdat
	.protected	_ZN7rocprim6detail19block_reduce_kernelILb1ELb1ELj2ENS0_21wrapped_reduce_configINS_14default_configEdEEdPdS5_dNS_4plusIdEEEEvT4_mT5_T6_T7_ ; -- Begin function _ZN7rocprim6detail19block_reduce_kernelILb1ELb1ELj2ENS0_21wrapped_reduce_configINS_14default_configEdEEdPdS5_dNS_4plusIdEEEEvT4_mT5_T6_T7_
	.globl	_ZN7rocprim6detail19block_reduce_kernelILb1ELb1ELj2ENS0_21wrapped_reduce_configINS_14default_configEdEEdPdS5_dNS_4plusIdEEEEvT4_mT5_T6_T7_
	.p2align	8
	.type	_ZN7rocprim6detail19block_reduce_kernelILb1ELb1ELj2ENS0_21wrapped_reduce_configINS_14default_configEdEEdPdS5_dNS_4plusIdEEEEvT4_mT5_T6_T7_,@function
_ZN7rocprim6detail19block_reduce_kernelILb1ELb1ELj2ENS0_21wrapped_reduce_configINS_14default_configEdEEdPdS5_dNS_4plusIdEEEEvT4_mT5_T6_T7_: ; @_ZN7rocprim6detail19block_reduce_kernelILb1ELb1ELj2ENS0_21wrapped_reduce_configINS_14default_configEdEEdPdS5_dNS_4plusIdEEEEvT4_mT5_T6_T7_
; %bb.0:
	s_mov_b32 s16, s15
	s_load_b256 s[8:15], s[0:1], 0x0
	s_mov_b32 s1, 0
	s_lshl_b32 s0, s16, 11
	v_lshlrev_b32_e32 v1, 3, v0
	s_lshl_b64 s[2:3], s[0:1], 3
	s_mov_b32 s17, s1
	v_mbcnt_lo_u32_b32 v19, -1, 0
	s_waitcnt lgkmcnt(0)
	s_lshr_b64 s[4:5], s[10:11], 11
	s_add_u32 s1, s8, s2
	s_addc_u32 s2, s9, s3
	v_add_co_u32 v17, s1, s1, v1
	s_delay_alu instid0(VALU_DEP_1)
	v_add_co_ci_u32_e64 v18, null, s2, 0, s1
	s_cmp_lg_u64 s[4:5], s[16:17]
	s_cbranch_scc0 .LBB1_6
; %bb.1:
	s_clause 0x1
	global_load_b64 v[1:2], v[17:18], off
	global_load_b64 v[3:4], v[17:18], off offset:2048
	v_add_co_u32 v5, vcc_lo, v17, 0x2000
	v_add_co_ci_u32_e32 v6, vcc_lo, 0, v18, vcc_lo
	v_add_co_u32 v9, vcc_lo, 0x1000, v17
	v_add_co_ci_u32_e32 v10, vcc_lo, 0, v18, vcc_lo
	s_clause 0x2
	global_load_b64 v[7:8], v[5:6], off offset:-4096
	global_load_b64 v[9:10], v[9:10], off offset:2048
	global_load_b64 v[5:6], v[5:6], off
	v_add_co_u32 v11, vcc_lo, 0x2000, v17
	v_add_co_ci_u32_e32 v12, vcc_lo, 0, v18, vcc_lo
	v_add_co_u32 v13, vcc_lo, 0x3000, v17
	v_add_co_ci_u32_e32 v14, vcc_lo, 0, v18, vcc_lo
	s_clause 0x2
	global_load_b64 v[11:12], v[11:12], off offset:2048
	global_load_b64 v[15:16], v[13:14], off
	global_load_b64 v[13:14], v[13:14], off offset:2048
	s_mov_b32 s1, exec_lo
	s_waitcnt vmcnt(6)
	v_add_f64 v[1:2], v[1:2], v[3:4]
	s_waitcnt vmcnt(5)
	s_delay_alu instid0(VALU_DEP_1) | instskip(SKIP_1) | instid1(VALU_DEP_1)
	v_add_f64 v[1:2], v[1:2], v[7:8]
	s_waitcnt vmcnt(4)
	v_add_f64 v[1:2], v[1:2], v[9:10]
	s_waitcnt vmcnt(3)
	s_delay_alu instid0(VALU_DEP_1) | instskip(SKIP_1) | instid1(VALU_DEP_1)
	v_add_f64 v[1:2], v[1:2], v[5:6]
	s_waitcnt vmcnt(2)
	v_add_f64 v[1:2], v[1:2], v[11:12]
	s_waitcnt vmcnt(1)
	s_delay_alu instid0(VALU_DEP_1) | instskip(SKIP_1) | instid1(VALU_DEP_1)
	v_add_f64 v[1:2], v[1:2], v[15:16]
	s_waitcnt vmcnt(0)
	v_add_f64 v[1:2], v[1:2], v[13:14]
	s_delay_alu instid0(VALU_DEP_1) | instskip(NEXT) | instid1(VALU_DEP_2)
	v_mov_b32_dpp v3, v1 quad_perm:[1,0,3,2] row_mask:0xf bank_mask:0xf
	v_mov_b32_dpp v4, v2 quad_perm:[1,0,3,2] row_mask:0xf bank_mask:0xf
	s_delay_alu instid0(VALU_DEP_1) | instskip(NEXT) | instid1(VALU_DEP_1)
	v_add_f64 v[1:2], v[1:2], v[3:4]
	v_mov_b32_dpp v3, v1 quad_perm:[2,3,0,1] row_mask:0xf bank_mask:0xf
	s_delay_alu instid0(VALU_DEP_2) | instskip(NEXT) | instid1(VALU_DEP_1)
	v_mov_b32_dpp v4, v2 quad_perm:[2,3,0,1] row_mask:0xf bank_mask:0xf
	v_add_f64 v[1:2], v[1:2], v[3:4]
	s_delay_alu instid0(VALU_DEP_1) | instskip(NEXT) | instid1(VALU_DEP_2)
	v_mov_b32_dpp v3, v1 row_ror:4 row_mask:0xf bank_mask:0xf
	v_mov_b32_dpp v4, v2 row_ror:4 row_mask:0xf bank_mask:0xf
	s_delay_alu instid0(VALU_DEP_1) | instskip(NEXT) | instid1(VALU_DEP_1)
	v_add_f64 v[1:2], v[1:2], v[3:4]
	v_mov_b32_dpp v3, v1 row_ror:8 row_mask:0xf bank_mask:0xf
	s_delay_alu instid0(VALU_DEP_2) | instskip(NEXT) | instid1(VALU_DEP_1)
	v_mov_b32_dpp v4, v2 row_ror:8 row_mask:0xf bank_mask:0xf
	v_add_f64 v[1:2], v[1:2], v[3:4]
	ds_swizzle_b32 v3, v1 offset:swizzle(BROADCAST,32,15)
	ds_swizzle_b32 v4, v2 offset:swizzle(BROADCAST,32,15)
	s_waitcnt lgkmcnt(0)
	v_add_f64 v[1:2], v[1:2], v[3:4]
	v_mov_b32_e32 v3, 0
	ds_bpermute_b32 v1, v3, v1 offset:124
	ds_bpermute_b32 v2, v3, v2 offset:124
	v_cmpx_eq_u32_e32 0, v19
	s_cbranch_execz .LBB1_3
; %bb.2:
	v_lshrrev_b32_e32 v3, 2, v0
	s_delay_alu instid0(VALU_DEP_1)
	v_and_b32_e32 v3, 56, v3
	s_waitcnt lgkmcnt(0)
	ds_store_b64 v3, v[1:2]
.LBB1_3:
	s_or_b32 exec_lo, exec_lo, s1
	s_delay_alu instid0(SALU_CYCLE_1)
	s_mov_b32 s1, exec_lo
	s_waitcnt lgkmcnt(0)
	s_barrier
	buffer_gl0_inv
	v_cmpx_gt_u32_e32 32, v0
	s_cbranch_execz .LBB1_5
; %bb.4:
	v_and_b32_e32 v5, 7, v19
	s_delay_alu instid0(VALU_DEP_1) | instskip(SKIP_4) | instid1(VALU_DEP_2)
	v_lshlrev_b32_e32 v1, 3, v5
	v_cmp_ne_u32_e32 vcc_lo, 7, v5
	ds_load_b64 v[1:2], v1
	v_add_co_ci_u32_e32 v3, vcc_lo, 0, v19, vcc_lo
	v_cmp_gt_u32_e32 vcc_lo, 6, v5
	v_lshlrev_b32_e32 v4, 2, v3
	s_waitcnt lgkmcnt(0)
	ds_bpermute_b32 v3, v4, v1
	ds_bpermute_b32 v4, v4, v2
	s_waitcnt lgkmcnt(0)
	v_add_f64 v[1:2], v[1:2], v[3:4]
	v_cndmask_b32_e64 v3, 0, 1, vcc_lo
	v_cmp_gt_u32_e32 vcc_lo, 4, v5
	s_delay_alu instid0(VALU_DEP_2) | instskip(NEXT) | instid1(VALU_DEP_1)
	v_lshlrev_b32_e32 v3, 1, v3
	v_add_lshl_u32 v4, v3, v19, 2
	ds_bpermute_b32 v3, v4, v1
	ds_bpermute_b32 v4, v4, v2
	s_waitcnt lgkmcnt(0)
	v_add_f64 v[1:2], v[1:2], v[3:4]
	v_cndmask_b32_e64 v3, 0, 1, vcc_lo
	s_delay_alu instid0(VALU_DEP_1) | instskip(NEXT) | instid1(VALU_DEP_1)
	v_lshlrev_b32_e32 v3, 2, v3
	v_add_lshl_u32 v4, v3, v19, 2
	ds_bpermute_b32 v3, v4, v1
	ds_bpermute_b32 v4, v4, v2
	s_waitcnt lgkmcnt(0)
	v_add_f64 v[1:2], v[1:2], v[3:4]
.LBB1_5:
	s_or_b32 exec_lo, exec_lo, s1
	s_branch .LBB1_44
.LBB1_6:
                                        ; implicit-def: $vgpr1_vgpr2
	s_cbranch_execz .LBB1_44
; %bb.7:
	s_sub_i32 s7, s10, s0
	s_mov_b32 s0, exec_lo
                                        ; implicit-def: $vgpr1_vgpr2_vgpr3_vgpr4_vgpr5_vgpr6_vgpr7_vgpr8_vgpr9_vgpr10_vgpr11_vgpr12_vgpr13_vgpr14_vgpr15_vgpr16
	v_cmpx_gt_u32_e64 s7, v0
	s_cbranch_execz .LBB1_9
; %bb.8:
	global_load_b64 v[1:2], v[17:18], off
.LBB1_9:
	s_or_b32 exec_lo, exec_lo, s0
	v_or_b32_e32 v20, 0x100, v0
	s_delay_alu instid0(VALU_DEP_1)
	v_cmp_gt_u32_e32 vcc_lo, s7, v20
	s_and_saveexec_b32 s0, vcc_lo
	s_cbranch_execz .LBB1_11
; %bb.10:
	global_load_b64 v[3:4], v[17:18], off offset:2048
.LBB1_11:
	s_or_b32 exec_lo, exec_lo, s0
	v_or_b32_e32 v20, 0x200, v0
	s_delay_alu instid0(VALU_DEP_1) | instskip(NEXT) | instid1(VALU_DEP_1)
	v_cmp_gt_u32_e64 s0, s7, v20
	s_and_saveexec_b32 s2, s0
	s_cbranch_execz .LBB1_13
; %bb.12:
	v_add_co_u32 v5, s1, 0x1000, v17
	s_delay_alu instid0(VALU_DEP_1)
	v_add_co_ci_u32_e64 v6, s1, 0, v18, s1
	global_load_b64 v[5:6], v[5:6], off
.LBB1_13:
	s_or_b32 exec_lo, exec_lo, s2
	v_or_b32_e32 v20, 0x300, v0
	s_delay_alu instid0(VALU_DEP_1) | instskip(NEXT) | instid1(VALU_DEP_1)
	v_cmp_gt_u32_e64 s1, s7, v20
	s_and_saveexec_b32 s3, s1
	s_cbranch_execz .LBB1_15
; %bb.14:
	v_add_co_u32 v7, s2, 0x1000, v17
	s_delay_alu instid0(VALU_DEP_1)
	v_add_co_ci_u32_e64 v8, s2, 0, v18, s2
	global_load_b64 v[7:8], v[7:8], off offset:2048
.LBB1_15:
	s_or_b32 exec_lo, exec_lo, s3
	v_or_b32_e32 v20, 0x400, v0
	s_delay_alu instid0(VALU_DEP_1) | instskip(NEXT) | instid1(VALU_DEP_1)
	v_cmp_gt_u32_e64 s2, s7, v20
	s_and_saveexec_b32 s4, s2
	s_cbranch_execz .LBB1_17
; %bb.16:
	v_add_co_u32 v9, s3, 0x2000, v17
	s_delay_alu instid0(VALU_DEP_1)
	v_add_co_ci_u32_e64 v10, s3, 0, v18, s3
	global_load_b64 v[9:10], v[9:10], off
.LBB1_17:
	s_or_b32 exec_lo, exec_lo, s4
	v_or_b32_e32 v20, 0x500, v0
	s_delay_alu instid0(VALU_DEP_1) | instskip(NEXT) | instid1(VALU_DEP_1)
	v_cmp_gt_u32_e64 s3, s7, v20
	s_and_saveexec_b32 s5, s3
	s_cbranch_execz .LBB1_19
; %bb.18:
	v_add_co_u32 v11, s4, 0x2000, v17
	s_delay_alu instid0(VALU_DEP_1)
	v_add_co_ci_u32_e64 v12, s4, 0, v18, s4
	global_load_b64 v[11:12], v[11:12], off offset:2048
.LBB1_19:
	;; [unrolled: 24-line block ×3, first 2 shown]
	s_or_b32 exec_lo, exec_lo, s8
	s_waitcnt vmcnt(0)
	v_add_f64 v[3:4], v[1:2], v[3:4]
	s_delay_alu instid0(VALU_DEP_1) | instskip(SKIP_1) | instid1(VALU_DEP_2)
	v_dual_cndmask_b32 v2, v2, v4 :: v_dual_cndmask_b32 v1, v1, v3
	v_cmp_ne_u32_e32 vcc_lo, 31, v19
	v_add_f64 v[3:4], v[5:6], v[1:2]
	v_add_co_ci_u32_e32 v5, vcc_lo, 0, v19, vcc_lo
	v_add_nc_u32_e32 v6, 1, v19
	s_delay_alu instid0(VALU_DEP_2) | instskip(NEXT) | instid1(VALU_DEP_4)
	v_lshlrev_b32_e32 v5, 2, v5
	v_cndmask_b32_e64 v2, v2, v4, s0
	v_cndmask_b32_e64 v1, v1, v3, s0
	s_min_u32 s0, s7, 0x100
	s_delay_alu instid0(VALU_DEP_1) | instskip(NEXT) | instid1(VALU_DEP_1)
	v_add_f64 v[3:4], v[7:8], v[1:2]
	v_cndmask_b32_e64 v2, v2, v4, s1
	s_delay_alu instid0(VALU_DEP_2) | instskip(SKIP_1) | instid1(VALU_DEP_1)
	v_cndmask_b32_e64 v1, v1, v3, s1
	s_mov_b32 s1, exec_lo
	v_add_f64 v[3:4], v[9:10], v[1:2]
	s_delay_alu instid0(VALU_DEP_1) | instskip(NEXT) | instid1(VALU_DEP_2)
	v_cndmask_b32_e64 v2, v2, v4, s2
	v_cndmask_b32_e64 v1, v1, v3, s2
	s_delay_alu instid0(VALU_DEP_1) | instskip(NEXT) | instid1(VALU_DEP_1)
	v_add_f64 v[3:4], v[11:12], v[1:2]
	v_cndmask_b32_e64 v2, v2, v4, s3
	s_delay_alu instid0(VALU_DEP_2) | instskip(NEXT) | instid1(VALU_DEP_1)
	v_cndmask_b32_e64 v1, v1, v3, s3
	v_add_f64 v[3:4], v[13:14], v[1:2]
	s_delay_alu instid0(VALU_DEP_1) | instskip(NEXT) | instid1(VALU_DEP_2)
	v_cndmask_b32_e64 v2, v2, v4, s4
	v_cndmask_b32_e64 v1, v1, v3, s4
	s_delay_alu instid0(VALU_DEP_1) | instskip(NEXT) | instid1(VALU_DEP_1)
	v_add_f64 v[3:4], v[15:16], v[1:2]
	v_cndmask_b32_e64 v1, v1, v3, s5
	s_delay_alu instid0(VALU_DEP_2) | instskip(SKIP_3) | instid1(VALU_DEP_1)
	v_cndmask_b32_e64 v2, v2, v4, s5
	ds_bpermute_b32 v3, v5, v1
	ds_bpermute_b32 v4, v5, v2
	v_and_b32_e32 v5, 0xe0, v0
	v_sub_nc_u32_e64 v5, s0, v5 clamp
	s_delay_alu instid0(VALU_DEP_1)
	v_cmpx_lt_u32_e64 v6, v5
	s_cbranch_execz .LBB1_25
; %bb.24:
	s_waitcnt lgkmcnt(0)
	v_add_f64 v[1:2], v[1:2], v[3:4]
.LBB1_25:
	s_or_b32 exec_lo, exec_lo, s1
	v_cmp_gt_u32_e32 vcc_lo, 30, v19
	v_add_nc_u32_e32 v6, 2, v19
	s_mov_b32 s1, exec_lo
	s_waitcnt lgkmcnt(1)
	v_cndmask_b32_e64 v3, 0, 1, vcc_lo
	s_delay_alu instid0(VALU_DEP_1) | instskip(SKIP_1) | instid1(VALU_DEP_1)
	v_lshlrev_b32_e32 v3, 1, v3
	s_waitcnt lgkmcnt(0)
	v_add_lshl_u32 v4, v3, v19, 2
	ds_bpermute_b32 v3, v4, v1
	ds_bpermute_b32 v4, v4, v2
	v_cmpx_lt_u32_e64 v6, v5
	s_cbranch_execz .LBB1_27
; %bb.26:
	s_waitcnt lgkmcnt(0)
	v_add_f64 v[1:2], v[1:2], v[3:4]
.LBB1_27:
	s_or_b32 exec_lo, exec_lo, s1
	v_cmp_gt_u32_e32 vcc_lo, 28, v19
	v_add_nc_u32_e32 v6, 4, v19
	s_mov_b32 s1, exec_lo
	s_waitcnt lgkmcnt(1)
	v_cndmask_b32_e64 v3, 0, 1, vcc_lo
	s_delay_alu instid0(VALU_DEP_1) | instskip(SKIP_1) | instid1(VALU_DEP_1)
	v_lshlrev_b32_e32 v3, 2, v3
	s_waitcnt lgkmcnt(0)
	v_add_lshl_u32 v4, v3, v19, 2
	ds_bpermute_b32 v3, v4, v1
	ds_bpermute_b32 v4, v4, v2
	;; [unrolled: 18-line block ×4, first 2 shown]
	v_cmpx_lt_u32_e64 v6, v5
	s_cbranch_execz .LBB1_33
; %bb.32:
	s_waitcnt lgkmcnt(0)
	v_add_f64 v[1:2], v[1:2], v[3:4]
.LBB1_33:
	s_or_b32 exec_lo, exec_lo, s1
	s_delay_alu instid0(SALU_CYCLE_1)
	s_mov_b32 s1, exec_lo
	v_cmpx_eq_u32_e32 0, v19
	s_cbranch_execz .LBB1_35
; %bb.34:
	s_waitcnt lgkmcnt(1)
	v_lshrrev_b32_e32 v3, 2, v0
	s_delay_alu instid0(VALU_DEP_1)
	v_and_b32_e32 v3, 56, v3
	ds_store_b64 v3, v[1:2] offset:64
.LBB1_35:
	s_or_b32 exec_lo, exec_lo, s1
	s_delay_alu instid0(SALU_CYCLE_1)
	s_mov_b32 s1, exec_lo
	s_waitcnt lgkmcnt(0)
	s_barrier
	buffer_gl0_inv
	v_cmpx_gt_u32_e32 8, v0
	s_cbranch_execz .LBB1_43
; %bb.36:
	v_lshlrev_b32_e32 v1, 3, v19
	v_and_b32_e32 v5, 7, v19
	s_add_i32 s0, s0, 31
	s_mov_b32 s2, exec_lo
	s_lshr_b32 s0, s0, 5
	ds_load_b64 v[1:2], v1 offset:64
	v_cmp_ne_u32_e32 vcc_lo, 7, v5
	v_add_nc_u32_e32 v6, 1, v5
	v_add_co_ci_u32_e32 v3, vcc_lo, 0, v19, vcc_lo
	s_delay_alu instid0(VALU_DEP_1)
	v_lshlrev_b32_e32 v4, 2, v3
	s_waitcnt lgkmcnt(0)
	ds_bpermute_b32 v3, v4, v1
	ds_bpermute_b32 v4, v4, v2
	v_cmpx_gt_u32_e64 s0, v6
	s_cbranch_execz .LBB1_38
; %bb.37:
	s_waitcnt lgkmcnt(0)
	v_add_f64 v[1:2], v[1:2], v[3:4]
.LBB1_38:
	s_or_b32 exec_lo, exec_lo, s2
	v_cmp_gt_u32_e32 vcc_lo, 6, v5
	v_add_nc_u32_e32 v6, 2, v5
	s_mov_b32 s2, exec_lo
	s_waitcnt lgkmcnt(1)
	v_cndmask_b32_e64 v3, 0, 1, vcc_lo
	s_delay_alu instid0(VALU_DEP_1) | instskip(SKIP_1) | instid1(VALU_DEP_1)
	v_lshlrev_b32_e32 v3, 1, v3
	s_waitcnt lgkmcnt(0)
	v_add_lshl_u32 v4, v3, v19, 2
	ds_bpermute_b32 v3, v4, v1
	ds_bpermute_b32 v4, v4, v2
	v_cmpx_gt_u32_e64 s0, v6
	s_cbranch_execz .LBB1_40
; %bb.39:
	s_waitcnt lgkmcnt(0)
	v_add_f64 v[1:2], v[1:2], v[3:4]
.LBB1_40:
	s_or_b32 exec_lo, exec_lo, s2
	v_cmp_gt_u32_e32 vcc_lo, 4, v5
	v_add_nc_u32_e32 v5, 4, v5
	s_waitcnt lgkmcnt(1)
	v_cndmask_b32_e64 v3, 0, 1, vcc_lo
	s_delay_alu instid0(VALU_DEP_2) | instskip(NEXT) | instid1(VALU_DEP_2)
	v_cmp_gt_u32_e32 vcc_lo, s0, v5
	v_lshlrev_b32_e32 v3, 2, v3
	s_waitcnt lgkmcnt(0)
	s_delay_alu instid0(VALU_DEP_1)
	v_add_lshl_u32 v4, v3, v19, 2
	ds_bpermute_b32 v3, v4, v1
	ds_bpermute_b32 v4, v4, v2
	s_and_saveexec_b32 s0, vcc_lo
	s_cbranch_execz .LBB1_42
; %bb.41:
	s_waitcnt lgkmcnt(0)
	v_add_f64 v[1:2], v[1:2], v[3:4]
.LBB1_42:
	s_or_b32 exec_lo, exec_lo, s0
.LBB1_43:
	s_delay_alu instid0(SALU_CYCLE_1)
	s_or_b32 exec_lo, exec_lo, s1
.LBB1_44:
	s_delay_alu instid0(SALU_CYCLE_1)
	s_mov_b32 s0, exec_lo
	v_cmpx_eq_u32_e32 0, v0
	s_cbranch_execz .LBB1_46
; %bb.45:
	s_delay_alu instid0(VALU_DEP_2)
	v_add_f64 v[0:1], v[1:2], s[14:15]
	s_lshl_b64 s[0:1], s[16:17], 3
	v_mov_b32_e32 v2, 0
	s_add_u32 s0, s12, s0
	s_addc_u32 s1, s13, s1
	s_cmp_eq_u64 s[10:11], 0
	s_cselect_b32 s2, -1, 0
	s_delay_alu instid0(VALU_DEP_2) | instid1(SALU_CYCLE_1)
	v_cndmask_b32_e64 v1, v1, s15, s2
	s_delay_alu instid0(VALU_DEP_3)
	v_cndmask_b32_e64 v0, v0, s14, s2
	global_store_b64 v2, v[0:1], s[0:1]
.LBB1_46:
	s_nop 0
	s_sendmsg sendmsg(MSG_DEALLOC_VGPRS)
	s_endpgm
	.section	.rodata,"a",@progbits
	.p2align	6, 0x0
	.amdhsa_kernel _ZN7rocprim6detail19block_reduce_kernelILb1ELb1ELj2ENS0_21wrapped_reduce_configINS_14default_configEdEEdPdS5_dNS_4plusIdEEEEvT4_mT5_T6_T7_
		.amdhsa_group_segment_fixed_size 128
		.amdhsa_private_segment_fixed_size 0
		.amdhsa_kernarg_size 36
		.amdhsa_user_sgpr_count 15
		.amdhsa_user_sgpr_dispatch_ptr 0
		.amdhsa_user_sgpr_queue_ptr 0
		.amdhsa_user_sgpr_kernarg_segment_ptr 1
		.amdhsa_user_sgpr_dispatch_id 0
		.amdhsa_user_sgpr_private_segment_size 0
		.amdhsa_wavefront_size32 1
		.amdhsa_uses_dynamic_stack 0
		.amdhsa_enable_private_segment 0
		.amdhsa_system_sgpr_workgroup_id_x 1
		.amdhsa_system_sgpr_workgroup_id_y 0
		.amdhsa_system_sgpr_workgroup_id_z 0
		.amdhsa_system_sgpr_workgroup_info 0
		.amdhsa_system_vgpr_workitem_id 0
		.amdhsa_next_free_vgpr 21
		.amdhsa_next_free_sgpr 18
		.amdhsa_reserve_vcc 1
		.amdhsa_float_round_mode_32 0
		.amdhsa_float_round_mode_16_64 0
		.amdhsa_float_denorm_mode_32 3
		.amdhsa_float_denorm_mode_16_64 3
		.amdhsa_dx10_clamp 1
		.amdhsa_ieee_mode 1
		.amdhsa_fp16_overflow 0
		.amdhsa_workgroup_processor_mode 1
		.amdhsa_memory_ordered 1
		.amdhsa_forward_progress 0
		.amdhsa_shared_vgpr_count 0
		.amdhsa_exception_fp_ieee_invalid_op 0
		.amdhsa_exception_fp_denorm_src 0
		.amdhsa_exception_fp_ieee_div_zero 0
		.amdhsa_exception_fp_ieee_overflow 0
		.amdhsa_exception_fp_ieee_underflow 0
		.amdhsa_exception_fp_ieee_inexact 0
		.amdhsa_exception_int_div_zero 0
	.end_amdhsa_kernel
	.section	.text._ZN7rocprim6detail19block_reduce_kernelILb1ELb1ELj2ENS0_21wrapped_reduce_configINS_14default_configEdEEdPdS5_dNS_4plusIdEEEEvT4_mT5_T6_T7_,"axG",@progbits,_ZN7rocprim6detail19block_reduce_kernelILb1ELb1ELj2ENS0_21wrapped_reduce_configINS_14default_configEdEEdPdS5_dNS_4plusIdEEEEvT4_mT5_T6_T7_,comdat
.Lfunc_end1:
	.size	_ZN7rocprim6detail19block_reduce_kernelILb1ELb1ELj2ENS0_21wrapped_reduce_configINS_14default_configEdEEdPdS5_dNS_4plusIdEEEEvT4_mT5_T6_T7_, .Lfunc_end1-_ZN7rocprim6detail19block_reduce_kernelILb1ELb1ELj2ENS0_21wrapped_reduce_configINS_14default_configEdEEdPdS5_dNS_4plusIdEEEEvT4_mT5_T6_T7_
                                        ; -- End function
	.section	.AMDGPU.csdata,"",@progbits
; Kernel info:
; codeLenInByte = 2300
; NumSgprs: 20
; NumVgprs: 21
; ScratchSize: 0
; MemoryBound: 1
; FloatMode: 240
; IeeeMode: 1
; LDSByteSize: 128 bytes/workgroup (compile time only)
; SGPRBlocks: 2
; VGPRBlocks: 2
; NumSGPRsForWavesPerEU: 20
; NumVGPRsForWavesPerEU: 21
; Occupancy: 16
; WaveLimiterHint : 1
; COMPUTE_PGM_RSRC2:SCRATCH_EN: 0
; COMPUTE_PGM_RSRC2:USER_SGPR: 15
; COMPUTE_PGM_RSRC2:TRAP_HANDLER: 0
; COMPUTE_PGM_RSRC2:TGID_X_EN: 1
; COMPUTE_PGM_RSRC2:TGID_Y_EN: 0
; COMPUTE_PGM_RSRC2:TGID_Z_EN: 0
; COMPUTE_PGM_RSRC2:TIDIG_COMP_CNT: 0
	.section	.text._ZN7rocprim6detail19block_reduce_kernelILb1ELb1ELj4ENS0_21wrapped_reduce_configINS_14default_configEdEEdPdS5_dNS_4plusIdEEEEvT4_mT5_T6_T7_,"axG",@progbits,_ZN7rocprim6detail19block_reduce_kernelILb1ELb1ELj4ENS0_21wrapped_reduce_configINS_14default_configEdEEdPdS5_dNS_4plusIdEEEEvT4_mT5_T6_T7_,comdat
	.protected	_ZN7rocprim6detail19block_reduce_kernelILb1ELb1ELj4ENS0_21wrapped_reduce_configINS_14default_configEdEEdPdS5_dNS_4plusIdEEEEvT4_mT5_T6_T7_ ; -- Begin function _ZN7rocprim6detail19block_reduce_kernelILb1ELb1ELj4ENS0_21wrapped_reduce_configINS_14default_configEdEEdPdS5_dNS_4plusIdEEEEvT4_mT5_T6_T7_
	.globl	_ZN7rocprim6detail19block_reduce_kernelILb1ELb1ELj4ENS0_21wrapped_reduce_configINS_14default_configEdEEdPdS5_dNS_4plusIdEEEEvT4_mT5_T6_T7_
	.p2align	8
	.type	_ZN7rocprim6detail19block_reduce_kernelILb1ELb1ELj4ENS0_21wrapped_reduce_configINS_14default_configEdEEdPdS5_dNS_4plusIdEEEEvT4_mT5_T6_T7_,@function
_ZN7rocprim6detail19block_reduce_kernelILb1ELb1ELj4ENS0_21wrapped_reduce_configINS_14default_configEdEEdPdS5_dNS_4plusIdEEEEvT4_mT5_T6_T7_: ; @_ZN7rocprim6detail19block_reduce_kernelILb1ELb1ELj4ENS0_21wrapped_reduce_configINS_14default_configEdEEdPdS5_dNS_4plusIdEEEEvT4_mT5_T6_T7_
; %bb.0:
	s_load_b256 s[16:23], s[0:1], 0x0
	s_mov_b32 s1, 0
	s_lshl_b32 s0, s15, 12
	v_lshlrev_b32_e32 v1, 3, v0
	s_lshl_b64 s[2:3], s[0:1], 3
	s_mov_b32 s25, s1
	v_mbcnt_lo_u32_b32 v35, -1, 0
	s_mov_b32 s24, s15
	s_waitcnt lgkmcnt(0)
	s_lshr_b64 s[4:5], s[18:19], 12
	s_add_u32 s1, s16, s2
	s_addc_u32 s2, s17, s3
	v_add_co_u32 v33, s1, s1, v1
	s_delay_alu instid0(VALU_DEP_1)
	v_add_co_ci_u32_e64 v34, null, s2, 0, s1
	s_cmp_lg_u64 s[4:5], s[24:25]
	s_cbranch_scc0 .LBB2_6
; %bb.1:
	s_clause 0x1
	global_load_b64 v[1:2], v[33:34], off
	global_load_b64 v[3:4], v[33:34], off offset:2048
	v_add_co_u32 v5, vcc_lo, v33, 0x2000
	v_add_co_ci_u32_e32 v6, vcc_lo, 0, v34, vcc_lo
	v_add_co_u32 v9, vcc_lo, 0x1000, v33
	v_add_co_ci_u32_e32 v10, vcc_lo, 0, v34, vcc_lo
	s_clause 0x2
	global_load_b64 v[7:8], v[5:6], off offset:-4096
	global_load_b64 v[9:10], v[9:10], off offset:2048
	global_load_b64 v[5:6], v[5:6], off
	v_add_co_u32 v11, vcc_lo, 0x2000, v33
	v_add_co_ci_u32_e32 v12, vcc_lo, 0, v34, vcc_lo
	v_add_co_u32 v13, vcc_lo, v33, 0x4000
	v_add_co_ci_u32_e32 v14, vcc_lo, 0, v34, vcc_lo
	global_load_b64 v[11:12], v[11:12], off offset:2048
	v_add_co_u32 v17, vcc_lo, 0x3000, v33
	global_load_b64 v[15:16], v[13:14], off offset:-4096
	v_add_co_ci_u32_e32 v18, vcc_lo, 0, v34, vcc_lo
	s_clause 0x1
	global_load_b64 v[17:18], v[17:18], off offset:2048
	global_load_b64 v[13:14], v[13:14], off
	v_add_co_u32 v19, vcc_lo, 0x4000, v33
	v_add_co_ci_u32_e32 v20, vcc_lo, 0, v34, vcc_lo
	s_mov_b32 s1, exec_lo
	global_load_b64 v[19:20], v[19:20], off offset:2048
	s_waitcnt vmcnt(8)
	v_add_f64 v[1:2], v[1:2], v[3:4]
	v_add_co_u32 v3, vcc_lo, v33, 0x6000
	v_add_co_ci_u32_e32 v4, vcc_lo, 0, v34, vcc_lo
	v_add_co_u32 v23, vcc_lo, 0x7000, v33
	v_add_co_ci_u32_e32 v24, vcc_lo, 0, v34, vcc_lo
	s_clause 0x1
	global_load_b64 v[21:22], v[3:4], off offset:-4096
	global_load_b64 v[25:26], v[23:24], off offset:2048
	s_waitcnt vmcnt(9)
	v_add_f64 v[1:2], v[1:2], v[7:8]
	v_add_co_u32 v7, vcc_lo, 0x5000, v33
	v_add_co_ci_u32_e32 v8, vcc_lo, 0, v34, vcc_lo
	global_load_b64 v[7:8], v[7:8], off offset:2048
	s_waitcnt vmcnt(9)
	v_add_f64 v[1:2], v[1:2], v[9:10]
	global_load_b64 v[9:10], v[23:24], off
	s_waitcnt vmcnt(9)
	v_add_f64 v[1:2], v[1:2], v[5:6]
	v_add_co_u32 v5, vcc_lo, 0x6000, v33
	v_add_co_ci_u32_e32 v6, vcc_lo, 0, v34, vcc_lo
	s_clause 0x1
	global_load_b64 v[5:6], v[5:6], off offset:2048
	global_load_b64 v[3:4], v[3:4], off
	s_waitcnt vmcnt(10)
	v_add_f64 v[1:2], v[1:2], v[11:12]
	s_waitcnt vmcnt(9)
	s_delay_alu instid0(VALU_DEP_1) | instskip(SKIP_1) | instid1(VALU_DEP_1)
	v_add_f64 v[1:2], v[1:2], v[15:16]
	s_waitcnt vmcnt(8)
	v_add_f64 v[1:2], v[1:2], v[17:18]
	s_waitcnt vmcnt(7)
	s_delay_alu instid0(VALU_DEP_1) | instskip(SKIP_1) | instid1(VALU_DEP_1)
	v_add_f64 v[1:2], v[1:2], v[13:14]
	;; [unrolled: 5-line block ×3, first 2 shown]
	s_waitcnt vmcnt(3)
	v_add_f64 v[1:2], v[1:2], v[7:8]
	s_waitcnt vmcnt(0)
	s_delay_alu instid0(VALU_DEP_1) | instskip(NEXT) | instid1(VALU_DEP_1)
	v_add_f64 v[1:2], v[1:2], v[3:4]
	v_add_f64 v[1:2], v[1:2], v[5:6]
	s_delay_alu instid0(VALU_DEP_1) | instskip(NEXT) | instid1(VALU_DEP_1)
	v_add_f64 v[1:2], v[1:2], v[9:10]
	v_add_f64 v[1:2], v[1:2], v[25:26]
	s_delay_alu instid0(VALU_DEP_1) | instskip(NEXT) | instid1(VALU_DEP_2)
	v_mov_b32_dpp v3, v1 quad_perm:[1,0,3,2] row_mask:0xf bank_mask:0xf
	v_mov_b32_dpp v4, v2 quad_perm:[1,0,3,2] row_mask:0xf bank_mask:0xf
	s_delay_alu instid0(VALU_DEP_1) | instskip(NEXT) | instid1(VALU_DEP_1)
	v_add_f64 v[1:2], v[1:2], v[3:4]
	v_mov_b32_dpp v3, v1 quad_perm:[2,3,0,1] row_mask:0xf bank_mask:0xf
	s_delay_alu instid0(VALU_DEP_2) | instskip(NEXT) | instid1(VALU_DEP_1)
	v_mov_b32_dpp v4, v2 quad_perm:[2,3,0,1] row_mask:0xf bank_mask:0xf
	v_add_f64 v[1:2], v[1:2], v[3:4]
	s_delay_alu instid0(VALU_DEP_1) | instskip(NEXT) | instid1(VALU_DEP_2)
	v_mov_b32_dpp v3, v1 row_ror:4 row_mask:0xf bank_mask:0xf
	v_mov_b32_dpp v4, v2 row_ror:4 row_mask:0xf bank_mask:0xf
	s_delay_alu instid0(VALU_DEP_1) | instskip(NEXT) | instid1(VALU_DEP_1)
	v_add_f64 v[1:2], v[1:2], v[3:4]
	v_mov_b32_dpp v3, v1 row_ror:8 row_mask:0xf bank_mask:0xf
	s_delay_alu instid0(VALU_DEP_2) | instskip(NEXT) | instid1(VALU_DEP_1)
	v_mov_b32_dpp v4, v2 row_ror:8 row_mask:0xf bank_mask:0xf
	v_add_f64 v[1:2], v[1:2], v[3:4]
	ds_swizzle_b32 v3, v1 offset:swizzle(BROADCAST,32,15)
	ds_swizzle_b32 v4, v2 offset:swizzle(BROADCAST,32,15)
	s_waitcnt lgkmcnt(0)
	v_add_f64 v[1:2], v[1:2], v[3:4]
	v_mov_b32_e32 v3, 0
	ds_bpermute_b32 v1, v3, v1 offset:124
	ds_bpermute_b32 v2, v3, v2 offset:124
	v_cmpx_eq_u32_e32 0, v35
	s_cbranch_execz .LBB2_3
; %bb.2:
	v_lshrrev_b32_e32 v3, 2, v0
	s_delay_alu instid0(VALU_DEP_1)
	v_and_b32_e32 v3, 56, v3
	s_waitcnt lgkmcnt(0)
	ds_store_b64 v3, v[1:2]
.LBB2_3:
	s_or_b32 exec_lo, exec_lo, s1
	s_delay_alu instid0(SALU_CYCLE_1)
	s_mov_b32 s1, exec_lo
	s_waitcnt lgkmcnt(0)
	s_barrier
	buffer_gl0_inv
	v_cmpx_gt_u32_e32 32, v0
	s_cbranch_execz .LBB2_5
; %bb.4:
	v_and_b32_e32 v5, 7, v35
	s_delay_alu instid0(VALU_DEP_1) | instskip(SKIP_4) | instid1(VALU_DEP_2)
	v_lshlrev_b32_e32 v1, 3, v5
	v_cmp_ne_u32_e32 vcc_lo, 7, v5
	ds_load_b64 v[1:2], v1
	v_add_co_ci_u32_e32 v3, vcc_lo, 0, v35, vcc_lo
	v_cmp_gt_u32_e32 vcc_lo, 6, v5
	v_lshlrev_b32_e32 v4, 2, v3
	s_waitcnt lgkmcnt(0)
	ds_bpermute_b32 v3, v4, v1
	ds_bpermute_b32 v4, v4, v2
	s_waitcnt lgkmcnt(0)
	v_add_f64 v[1:2], v[1:2], v[3:4]
	v_cndmask_b32_e64 v3, 0, 1, vcc_lo
	v_cmp_gt_u32_e32 vcc_lo, 4, v5
	s_delay_alu instid0(VALU_DEP_2) | instskip(NEXT) | instid1(VALU_DEP_1)
	v_lshlrev_b32_e32 v3, 1, v3
	v_add_lshl_u32 v4, v3, v35, 2
	ds_bpermute_b32 v3, v4, v1
	ds_bpermute_b32 v4, v4, v2
	s_waitcnt lgkmcnt(0)
	v_add_f64 v[1:2], v[1:2], v[3:4]
	v_cndmask_b32_e64 v3, 0, 1, vcc_lo
	s_delay_alu instid0(VALU_DEP_1) | instskip(NEXT) | instid1(VALU_DEP_1)
	v_lshlrev_b32_e32 v3, 2, v3
	v_add_lshl_u32 v4, v3, v35, 2
	ds_bpermute_b32 v3, v4, v1
	ds_bpermute_b32 v4, v4, v2
	s_waitcnt lgkmcnt(0)
	v_add_f64 v[1:2], v[1:2], v[3:4]
.LBB2_5:
	s_or_b32 exec_lo, exec_lo, s1
	s_branch .LBB2_60
.LBB2_6:
                                        ; implicit-def: $vgpr1_vgpr2
	s_cbranch_execz .LBB2_60
; %bb.7:
	s_sub_i32 s15, s18, s0
	s_mov_b32 s0, exec_lo
                                        ; implicit-def: $vgpr1_vgpr2_vgpr3_vgpr4_vgpr5_vgpr6_vgpr7_vgpr8_vgpr9_vgpr10_vgpr11_vgpr12_vgpr13_vgpr14_vgpr15_vgpr16_vgpr17_vgpr18_vgpr19_vgpr20_vgpr21_vgpr22_vgpr23_vgpr24_vgpr25_vgpr26_vgpr27_vgpr28_vgpr29_vgpr30_vgpr31_vgpr32
	v_cmpx_gt_u32_e64 s15, v0
	s_cbranch_execz .LBB2_9
; %bb.8:
	global_load_b64 v[1:2], v[33:34], off
.LBB2_9:
	s_or_b32 exec_lo, exec_lo, s0
	v_or_b32_e32 v36, 0x100, v0
	s_delay_alu instid0(VALU_DEP_1)
	v_cmp_gt_u32_e32 vcc_lo, s15, v36
	s_and_saveexec_b32 s0, vcc_lo
	s_cbranch_execz .LBB2_11
; %bb.10:
	global_load_b64 v[3:4], v[33:34], off offset:2048
.LBB2_11:
	s_or_b32 exec_lo, exec_lo, s0
	v_or_b32_e32 v36, 0x200, v0
	s_delay_alu instid0(VALU_DEP_1) | instskip(NEXT) | instid1(VALU_DEP_1)
	v_cmp_gt_u32_e64 s0, s15, v36
	s_and_saveexec_b32 s2, s0
	s_cbranch_execz .LBB2_13
; %bb.12:
	v_add_co_u32 v5, s1, 0x1000, v33
	s_delay_alu instid0(VALU_DEP_1)
	v_add_co_ci_u32_e64 v6, s1, 0, v34, s1
	global_load_b64 v[5:6], v[5:6], off
.LBB2_13:
	s_or_b32 exec_lo, exec_lo, s2
	v_or_b32_e32 v36, 0x300, v0
	s_delay_alu instid0(VALU_DEP_1) | instskip(NEXT) | instid1(VALU_DEP_1)
	v_cmp_gt_u32_e64 s1, s15, v36
	s_and_saveexec_b32 s3, s1
	s_cbranch_execz .LBB2_15
; %bb.14:
	v_add_co_u32 v7, s2, 0x1000, v33
	s_delay_alu instid0(VALU_DEP_1)
	v_add_co_ci_u32_e64 v8, s2, 0, v34, s2
	global_load_b64 v[7:8], v[7:8], off offset:2048
.LBB2_15:
	s_or_b32 exec_lo, exec_lo, s3
	v_or_b32_e32 v36, 0x400, v0
	s_delay_alu instid0(VALU_DEP_1) | instskip(NEXT) | instid1(VALU_DEP_1)
	v_cmp_gt_u32_e64 s2, s15, v36
	s_and_saveexec_b32 s4, s2
	s_cbranch_execz .LBB2_17
; %bb.16:
	v_add_co_u32 v9, s3, 0x2000, v33
	s_delay_alu instid0(VALU_DEP_1)
	v_add_co_ci_u32_e64 v10, s3, 0, v34, s3
	global_load_b64 v[9:10], v[9:10], off
.LBB2_17:
	s_or_b32 exec_lo, exec_lo, s4
	v_or_b32_e32 v36, 0x500, v0
	s_delay_alu instid0(VALU_DEP_1) | instskip(NEXT) | instid1(VALU_DEP_1)
	v_cmp_gt_u32_e64 s3, s15, v36
	s_and_saveexec_b32 s5, s3
	s_cbranch_execz .LBB2_19
; %bb.18:
	v_add_co_u32 v11, s4, 0x2000, v33
	s_delay_alu instid0(VALU_DEP_1)
	v_add_co_ci_u32_e64 v12, s4, 0, v34, s4
	global_load_b64 v[11:12], v[11:12], off offset:2048
.LBB2_19:
	;; [unrolled: 24-line block ×7, first 2 shown]
	s_or_b32 exec_lo, exec_lo, s16
	s_waitcnt vmcnt(0)
	v_add_f64 v[3:4], v[1:2], v[3:4]
	s_delay_alu instid0(VALU_DEP_1) | instskip(SKIP_1) | instid1(VALU_DEP_2)
	v_dual_cndmask_b32 v2, v2, v4 :: v_dual_cndmask_b32 v1, v1, v3
	v_cmp_ne_u32_e32 vcc_lo, 31, v35
	v_add_f64 v[3:4], v[5:6], v[1:2]
	v_add_co_ci_u32_e32 v5, vcc_lo, 0, v35, vcc_lo
	v_add_nc_u32_e32 v6, 1, v35
	s_delay_alu instid0(VALU_DEP_2) | instskip(NEXT) | instid1(VALU_DEP_4)
	v_lshlrev_b32_e32 v5, 2, v5
	v_cndmask_b32_e64 v2, v2, v4, s0
	v_cndmask_b32_e64 v1, v1, v3, s0
	s_min_u32 s0, s15, 0x100
	s_delay_alu instid0(VALU_DEP_1) | instskip(NEXT) | instid1(VALU_DEP_1)
	v_add_f64 v[3:4], v[7:8], v[1:2]
	v_cndmask_b32_e64 v2, v2, v4, s1
	s_delay_alu instid0(VALU_DEP_2) | instskip(SKIP_1) | instid1(VALU_DEP_1)
	v_cndmask_b32_e64 v1, v1, v3, s1
	s_mov_b32 s1, exec_lo
	v_add_f64 v[3:4], v[9:10], v[1:2]
	s_delay_alu instid0(VALU_DEP_1) | instskip(NEXT) | instid1(VALU_DEP_2)
	v_cndmask_b32_e64 v2, v2, v4, s2
	v_cndmask_b32_e64 v1, v1, v3, s2
	s_delay_alu instid0(VALU_DEP_1) | instskip(NEXT) | instid1(VALU_DEP_1)
	v_add_f64 v[3:4], v[11:12], v[1:2]
	v_cndmask_b32_e64 v2, v2, v4, s3
	s_delay_alu instid0(VALU_DEP_2) | instskip(NEXT) | instid1(VALU_DEP_1)
	v_cndmask_b32_e64 v1, v1, v3, s3
	v_add_f64 v[3:4], v[13:14], v[1:2]
	s_delay_alu instid0(VALU_DEP_1) | instskip(NEXT) | instid1(VALU_DEP_2)
	v_cndmask_b32_e64 v2, v2, v4, s4
	v_cndmask_b32_e64 v1, v1, v3, s4
	s_delay_alu instid0(VALU_DEP_1) | instskip(NEXT) | instid1(VALU_DEP_1)
	v_add_f64 v[3:4], v[15:16], v[1:2]
	v_cndmask_b32_e64 v2, v2, v4, s5
	s_delay_alu instid0(VALU_DEP_2) | instskip(NEXT) | instid1(VALU_DEP_1)
	v_cndmask_b32_e64 v1, v1, v3, s5
	;; [unrolled: 9-line block ×5, first 2 shown]
	v_add_f64 v[3:4], v[29:30], v[1:2]
	s_delay_alu instid0(VALU_DEP_1) | instskip(NEXT) | instid1(VALU_DEP_2)
	v_cndmask_b32_e64 v2, v2, v4, s12
	v_cndmask_b32_e64 v1, v1, v3, s12
	s_delay_alu instid0(VALU_DEP_1) | instskip(NEXT) | instid1(VALU_DEP_1)
	v_add_f64 v[3:4], v[31:32], v[1:2]
	v_cndmask_b32_e64 v1, v1, v3, s13
	s_delay_alu instid0(VALU_DEP_2) | instskip(SKIP_3) | instid1(VALU_DEP_1)
	v_cndmask_b32_e64 v2, v2, v4, s13
	ds_bpermute_b32 v3, v5, v1
	ds_bpermute_b32 v4, v5, v2
	v_and_b32_e32 v5, 0xe0, v0
	v_sub_nc_u32_e64 v5, s0, v5 clamp
	s_delay_alu instid0(VALU_DEP_1)
	v_cmpx_lt_u32_e64 v6, v5
	s_cbranch_execz .LBB2_41
; %bb.40:
	s_waitcnt lgkmcnt(0)
	v_add_f64 v[1:2], v[1:2], v[3:4]
.LBB2_41:
	s_or_b32 exec_lo, exec_lo, s1
	v_cmp_gt_u32_e32 vcc_lo, 30, v35
	v_add_nc_u32_e32 v6, 2, v35
	s_mov_b32 s1, exec_lo
	s_waitcnt lgkmcnt(1)
	v_cndmask_b32_e64 v3, 0, 1, vcc_lo
	s_delay_alu instid0(VALU_DEP_1) | instskip(SKIP_1) | instid1(VALU_DEP_1)
	v_lshlrev_b32_e32 v3, 1, v3
	s_waitcnt lgkmcnt(0)
	v_add_lshl_u32 v4, v3, v35, 2
	ds_bpermute_b32 v3, v4, v1
	ds_bpermute_b32 v4, v4, v2
	v_cmpx_lt_u32_e64 v6, v5
	s_cbranch_execz .LBB2_43
; %bb.42:
	s_waitcnt lgkmcnt(0)
	v_add_f64 v[1:2], v[1:2], v[3:4]
.LBB2_43:
	s_or_b32 exec_lo, exec_lo, s1
	v_cmp_gt_u32_e32 vcc_lo, 28, v35
	v_add_nc_u32_e32 v6, 4, v35
	s_mov_b32 s1, exec_lo
	s_waitcnt lgkmcnt(1)
	v_cndmask_b32_e64 v3, 0, 1, vcc_lo
	s_delay_alu instid0(VALU_DEP_1) | instskip(SKIP_1) | instid1(VALU_DEP_1)
	v_lshlrev_b32_e32 v3, 2, v3
	s_waitcnt lgkmcnt(0)
	v_add_lshl_u32 v4, v3, v35, 2
	ds_bpermute_b32 v3, v4, v1
	ds_bpermute_b32 v4, v4, v2
	;; [unrolled: 18-line block ×4, first 2 shown]
	v_cmpx_lt_u32_e64 v6, v5
	s_cbranch_execz .LBB2_49
; %bb.48:
	s_waitcnt lgkmcnt(0)
	v_add_f64 v[1:2], v[1:2], v[3:4]
.LBB2_49:
	s_or_b32 exec_lo, exec_lo, s1
	s_delay_alu instid0(SALU_CYCLE_1)
	s_mov_b32 s1, exec_lo
	v_cmpx_eq_u32_e32 0, v35
	s_cbranch_execz .LBB2_51
; %bb.50:
	s_waitcnt lgkmcnt(1)
	v_lshrrev_b32_e32 v3, 2, v0
	s_delay_alu instid0(VALU_DEP_1)
	v_and_b32_e32 v3, 56, v3
	ds_store_b64 v3, v[1:2] offset:64
.LBB2_51:
	s_or_b32 exec_lo, exec_lo, s1
	s_delay_alu instid0(SALU_CYCLE_1)
	s_mov_b32 s1, exec_lo
	s_waitcnt lgkmcnt(0)
	s_barrier
	buffer_gl0_inv
	v_cmpx_gt_u32_e32 8, v0
	s_cbranch_execz .LBB2_59
; %bb.52:
	v_lshlrev_b32_e32 v1, 3, v35
	v_and_b32_e32 v5, 7, v35
	s_add_i32 s0, s0, 31
	s_mov_b32 s2, exec_lo
	s_lshr_b32 s0, s0, 5
	ds_load_b64 v[1:2], v1 offset:64
	v_cmp_ne_u32_e32 vcc_lo, 7, v5
	v_add_nc_u32_e32 v6, 1, v5
	v_add_co_ci_u32_e32 v3, vcc_lo, 0, v35, vcc_lo
	s_delay_alu instid0(VALU_DEP_1)
	v_lshlrev_b32_e32 v4, 2, v3
	s_waitcnt lgkmcnt(0)
	ds_bpermute_b32 v3, v4, v1
	ds_bpermute_b32 v4, v4, v2
	v_cmpx_gt_u32_e64 s0, v6
	s_cbranch_execz .LBB2_54
; %bb.53:
	s_waitcnt lgkmcnt(0)
	v_add_f64 v[1:2], v[1:2], v[3:4]
.LBB2_54:
	s_or_b32 exec_lo, exec_lo, s2
	v_cmp_gt_u32_e32 vcc_lo, 6, v5
	v_add_nc_u32_e32 v6, 2, v5
	s_mov_b32 s2, exec_lo
	s_waitcnt lgkmcnt(1)
	v_cndmask_b32_e64 v3, 0, 1, vcc_lo
	s_delay_alu instid0(VALU_DEP_1) | instskip(SKIP_1) | instid1(VALU_DEP_1)
	v_lshlrev_b32_e32 v3, 1, v3
	s_waitcnt lgkmcnt(0)
	v_add_lshl_u32 v4, v3, v35, 2
	ds_bpermute_b32 v3, v4, v1
	ds_bpermute_b32 v4, v4, v2
	v_cmpx_gt_u32_e64 s0, v6
	s_cbranch_execz .LBB2_56
; %bb.55:
	s_waitcnt lgkmcnt(0)
	v_add_f64 v[1:2], v[1:2], v[3:4]
.LBB2_56:
	s_or_b32 exec_lo, exec_lo, s2
	v_cmp_gt_u32_e32 vcc_lo, 4, v5
	v_add_nc_u32_e32 v5, 4, v5
	s_waitcnt lgkmcnt(1)
	v_cndmask_b32_e64 v3, 0, 1, vcc_lo
	s_delay_alu instid0(VALU_DEP_2) | instskip(NEXT) | instid1(VALU_DEP_2)
	v_cmp_gt_u32_e32 vcc_lo, s0, v5
	v_lshlrev_b32_e32 v3, 2, v3
	s_waitcnt lgkmcnt(0)
	s_delay_alu instid0(VALU_DEP_1)
	v_add_lshl_u32 v4, v3, v35, 2
	ds_bpermute_b32 v3, v4, v1
	ds_bpermute_b32 v4, v4, v2
	s_and_saveexec_b32 s0, vcc_lo
	s_cbranch_execz .LBB2_58
; %bb.57:
	s_waitcnt lgkmcnt(0)
	v_add_f64 v[1:2], v[1:2], v[3:4]
.LBB2_58:
	s_or_b32 exec_lo, exec_lo, s0
.LBB2_59:
	s_delay_alu instid0(SALU_CYCLE_1)
	s_or_b32 exec_lo, exec_lo, s1
.LBB2_60:
	s_delay_alu instid0(SALU_CYCLE_1)
	s_mov_b32 s0, exec_lo
	v_cmpx_eq_u32_e32 0, v0
	s_cbranch_execz .LBB2_62
; %bb.61:
	s_delay_alu instid0(VALU_DEP_2)
	v_add_f64 v[0:1], v[1:2], s[22:23]
	s_lshl_b64 s[0:1], s[24:25], 3
	v_mov_b32_e32 v2, 0
	s_add_u32 s0, s20, s0
	s_addc_u32 s1, s21, s1
	s_cmp_eq_u64 s[18:19], 0
	s_cselect_b32 s2, -1, 0
	s_delay_alu instid0(VALU_DEP_2) | instid1(SALU_CYCLE_1)
	v_cndmask_b32_e64 v1, v1, s23, s2
	s_delay_alu instid0(VALU_DEP_3)
	v_cndmask_b32_e64 v0, v0, s22, s2
	global_store_b64 v2, v[0:1], s[0:1]
.LBB2_62:
	s_nop 0
	s_sendmsg sendmsg(MSG_DEALLOC_VGPRS)
	s_endpgm
	.section	.rodata,"a",@progbits
	.p2align	6, 0x0
	.amdhsa_kernel _ZN7rocprim6detail19block_reduce_kernelILb1ELb1ELj4ENS0_21wrapped_reduce_configINS_14default_configEdEEdPdS5_dNS_4plusIdEEEEvT4_mT5_T6_T7_
		.amdhsa_group_segment_fixed_size 128
		.amdhsa_private_segment_fixed_size 0
		.amdhsa_kernarg_size 36
		.amdhsa_user_sgpr_count 15
		.amdhsa_user_sgpr_dispatch_ptr 0
		.amdhsa_user_sgpr_queue_ptr 0
		.amdhsa_user_sgpr_kernarg_segment_ptr 1
		.amdhsa_user_sgpr_dispatch_id 0
		.amdhsa_user_sgpr_private_segment_size 0
		.amdhsa_wavefront_size32 1
		.amdhsa_uses_dynamic_stack 0
		.amdhsa_enable_private_segment 0
		.amdhsa_system_sgpr_workgroup_id_x 1
		.amdhsa_system_sgpr_workgroup_id_y 0
		.amdhsa_system_sgpr_workgroup_id_z 0
		.amdhsa_system_sgpr_workgroup_info 0
		.amdhsa_system_vgpr_workitem_id 0
		.amdhsa_next_free_vgpr 37
		.amdhsa_next_free_sgpr 26
		.amdhsa_reserve_vcc 1
		.amdhsa_float_round_mode_32 0
		.amdhsa_float_round_mode_16_64 0
		.amdhsa_float_denorm_mode_32 3
		.amdhsa_float_denorm_mode_16_64 3
		.amdhsa_dx10_clamp 1
		.amdhsa_ieee_mode 1
		.amdhsa_fp16_overflow 0
		.amdhsa_workgroup_processor_mode 1
		.amdhsa_memory_ordered 1
		.amdhsa_forward_progress 0
		.amdhsa_shared_vgpr_count 0
		.amdhsa_exception_fp_ieee_invalid_op 0
		.amdhsa_exception_fp_denorm_src 0
		.amdhsa_exception_fp_ieee_div_zero 0
		.amdhsa_exception_fp_ieee_overflow 0
		.amdhsa_exception_fp_ieee_underflow 0
		.amdhsa_exception_fp_ieee_inexact 0
		.amdhsa_exception_int_div_zero 0
	.end_amdhsa_kernel
	.section	.text._ZN7rocprim6detail19block_reduce_kernelILb1ELb1ELj4ENS0_21wrapped_reduce_configINS_14default_configEdEEdPdS5_dNS_4plusIdEEEEvT4_mT5_T6_T7_,"axG",@progbits,_ZN7rocprim6detail19block_reduce_kernelILb1ELb1ELj4ENS0_21wrapped_reduce_configINS_14default_configEdEEdPdS5_dNS_4plusIdEEEEvT4_mT5_T6_T7_,comdat
.Lfunc_end2:
	.size	_ZN7rocprim6detail19block_reduce_kernelILb1ELb1ELj4ENS0_21wrapped_reduce_configINS_14default_configEdEEdPdS5_dNS_4plusIdEEEEvT4_mT5_T6_T7_, .Lfunc_end2-_ZN7rocprim6detail19block_reduce_kernelILb1ELb1ELj4ENS0_21wrapped_reduce_configINS_14default_configEdEEdPdS5_dNS_4plusIdEEEEvT4_mT5_T6_T7_
                                        ; -- End function
	.section	.AMDGPU.csdata,"",@progbits
; Kernel info:
; codeLenInByte = 3312
; NumSgprs: 28
; NumVgprs: 37
; ScratchSize: 0
; MemoryBound: 1
; FloatMode: 240
; IeeeMode: 1
; LDSByteSize: 128 bytes/workgroup (compile time only)
; SGPRBlocks: 3
; VGPRBlocks: 4
; NumSGPRsForWavesPerEU: 28
; NumVGPRsForWavesPerEU: 37
; Occupancy: 16
; WaveLimiterHint : 1
; COMPUTE_PGM_RSRC2:SCRATCH_EN: 0
; COMPUTE_PGM_RSRC2:USER_SGPR: 15
; COMPUTE_PGM_RSRC2:TRAP_HANDLER: 0
; COMPUTE_PGM_RSRC2:TGID_X_EN: 1
; COMPUTE_PGM_RSRC2:TGID_Y_EN: 0
; COMPUTE_PGM_RSRC2:TGID_Z_EN: 0
; COMPUTE_PGM_RSRC2:TIDIG_COMP_CNT: 0
	.section	.text._ZN7rocprim6detail19block_reduce_kernelILb1ELb1ELj8ENS0_21wrapped_reduce_configINS_14default_configEdEEdPdS5_dNS_4plusIdEEEEvT4_mT5_T6_T7_,"axG",@progbits,_ZN7rocprim6detail19block_reduce_kernelILb1ELb1ELj8ENS0_21wrapped_reduce_configINS_14default_configEdEEdPdS5_dNS_4plusIdEEEEvT4_mT5_T6_T7_,comdat
	.protected	_ZN7rocprim6detail19block_reduce_kernelILb1ELb1ELj8ENS0_21wrapped_reduce_configINS_14default_configEdEEdPdS5_dNS_4plusIdEEEEvT4_mT5_T6_T7_ ; -- Begin function _ZN7rocprim6detail19block_reduce_kernelILb1ELb1ELj8ENS0_21wrapped_reduce_configINS_14default_configEdEEdPdS5_dNS_4plusIdEEEEvT4_mT5_T6_T7_
	.globl	_ZN7rocprim6detail19block_reduce_kernelILb1ELb1ELj8ENS0_21wrapped_reduce_configINS_14default_configEdEEdPdS5_dNS_4plusIdEEEEvT4_mT5_T6_T7_
	.p2align	8
	.type	_ZN7rocprim6detail19block_reduce_kernelILb1ELb1ELj8ENS0_21wrapped_reduce_configINS_14default_configEdEEdPdS5_dNS_4plusIdEEEEvT4_mT5_T6_T7_,@function
_ZN7rocprim6detail19block_reduce_kernelILb1ELb1ELj8ENS0_21wrapped_reduce_configINS_14default_configEdEEdPdS5_dNS_4plusIdEEEEvT4_mT5_T6_T7_: ; @_ZN7rocprim6detail19block_reduce_kernelILb1ELb1ELj8ENS0_21wrapped_reduce_configINS_14default_configEdEEdPdS5_dNS_4plusIdEEEEvT4_mT5_T6_T7_
; %bb.0:
	s_load_b256 s[36:43], s[0:1], 0x0
	s_mov_b32 s1, 0
	s_lshl_b32 s0, s15, 13
	v_lshlrev_b32_e32 v1, 3, v0
	s_lshl_b64 s[2:3], s[0:1], 3
	s_mov_b32 s35, s1
	v_mbcnt_lo_u32_b32 v67, -1, 0
	s_mov_b32 s34, s15
	s_waitcnt lgkmcnt(0)
	s_lshr_b64 s[4:5], s[38:39], 13
	s_add_u32 s1, s36, s2
	s_addc_u32 s2, s37, s3
	v_add_co_u32 v1, s1, s1, v1
	s_delay_alu instid0(VALU_DEP_1)
	v_add_co_ci_u32_e64 v2, null, s2, 0, s1
	s_cmp_lg_u64 s[4:5], s[34:35]
	s_cbranch_scc0 .LBB3_6
; %bb.1:
	s_clause 0x1
	global_load_b64 v[3:4], v[1:2], off
	global_load_b64 v[5:6], v[1:2], off offset:2048
	v_add_co_u32 v7, vcc_lo, v1, 0x2000
	v_add_co_ci_u32_e32 v8, vcc_lo, 0, v2, vcc_lo
	v_add_co_u32 v11, vcc_lo, 0x1000, v1
	v_add_co_ci_u32_e32 v12, vcc_lo, 0, v2, vcc_lo
	s_clause 0x2
	global_load_b64 v[9:10], v[7:8], off offset:-4096
	global_load_b64 v[11:12], v[11:12], off offset:2048
	global_load_b64 v[7:8], v[7:8], off
	v_add_co_u32 v13, vcc_lo, 0x2000, v1
	v_add_co_ci_u32_e32 v14, vcc_lo, 0, v2, vcc_lo
	v_add_co_u32 v15, vcc_lo, v1, 0x4000
	v_add_co_ci_u32_e32 v16, vcc_lo, 0, v2, vcc_lo
	global_load_b64 v[13:14], v[13:14], off offset:2048
	v_add_co_u32 v19, vcc_lo, 0x3000, v1
	global_load_b64 v[17:18], v[15:16], off offset:-4096
	v_add_co_ci_u32_e32 v20, vcc_lo, 0, v2, vcc_lo
	s_clause 0x1
	global_load_b64 v[19:20], v[19:20], off offset:2048
	global_load_b64 v[15:16], v[15:16], off
	v_add_co_u32 v21, vcc_lo, 0x4000, v1
	v_add_co_ci_u32_e32 v22, vcc_lo, 0, v2, vcc_lo
	s_mov_b32 s1, exec_lo
	global_load_b64 v[21:22], v[21:22], off offset:2048
	s_waitcnt vmcnt(8)
	v_add_f64 v[3:4], v[3:4], v[5:6]
	v_add_co_u32 v5, vcc_lo, v1, 0x6000
	v_add_co_ci_u32_e32 v6, vcc_lo, 0, v2, vcc_lo
	v_add_co_u32 v25, vcc_lo, 0xf000, v1
	v_add_co_ci_u32_e32 v26, vcc_lo, 0, v2, vcc_lo
	s_clause 0x1
	global_load_b64 v[23:24], v[5:6], off offset:-4096
	global_load_b64 v[27:28], v[25:26], off offset:2048
	s_waitcnt vmcnt(9)
	v_add_f64 v[3:4], v[3:4], v[9:10]
	v_add_co_u32 v9, vcc_lo, 0x5000, v1
	v_add_co_ci_u32_e32 v10, vcc_lo, 0, v2, vcc_lo
	global_load_b64 v[9:10], v[9:10], off offset:2048
	s_waitcnt vmcnt(9)
	v_add_f64 v[3:4], v[3:4], v[11:12]
	s_waitcnt vmcnt(8)
	s_delay_alu instid0(VALU_DEP_1)
	v_add_f64 v[3:4], v[3:4], v[7:8]
	v_add_co_u32 v7, vcc_lo, 0x6000, v1
	v_add_co_ci_u32_e32 v8, vcc_lo, 0, v2, vcc_lo
	v_add_co_u32 v11, vcc_lo, v1, 0x8000
	v_add_co_ci_u32_e32 v12, vcc_lo, 0, v2, vcc_lo
	global_load_b64 v[7:8], v[7:8], off offset:2048
	s_waitcnt vmcnt(8)
	v_add_f64 v[3:4], v[3:4], v[13:14]
	global_load_b64 v[13:14], v[11:12], off offset:-4096
	s_waitcnt vmcnt(8)
	v_add_f64 v[3:4], v[3:4], v[17:18]
	v_add_co_u32 v17, vcc_lo, 0x7000, v1
	v_add_co_ci_u32_e32 v18, vcc_lo, 0, v2, vcc_lo
	global_load_b64 v[17:18], v[17:18], off offset:2048
	s_waitcnt vmcnt(8)
	v_add_f64 v[3:4], v[3:4], v[19:20]
	s_waitcnt vmcnt(7)
	s_delay_alu instid0(VALU_DEP_1)
	v_add_f64 v[3:4], v[3:4], v[15:16]
	v_add_co_u32 v15, vcc_lo, 0x8000, v1
	v_add_co_ci_u32_e32 v16, vcc_lo, 0, v2, vcc_lo
	v_add_co_u32 v19, vcc_lo, v1, 0xa000
	v_add_co_ci_u32_e32 v20, vcc_lo, 0, v2, vcc_lo
	s_clause 0x2
	global_load_b64 v[15:16], v[15:16], off offset:2048
	global_load_b64 v[11:12], v[11:12], off
	global_load_b64 v[5:6], v[5:6], off
	s_waitcnt vmcnt(9)
	v_add_f64 v[3:4], v[3:4], v[21:22]
	global_load_b64 v[21:22], v[19:20], off offset:-4096
	s_waitcnt vmcnt(9)
	v_add_f64 v[3:4], v[3:4], v[23:24]
	v_add_co_u32 v23, vcc_lo, 0x9000, v1
	v_add_co_ci_u32_e32 v24, vcc_lo, 0, v2, vcc_lo
	global_load_b64 v[23:24], v[23:24], off offset:2048
	s_waitcnt vmcnt(8)
	v_add_f64 v[3:4], v[3:4], v[9:10]
	global_load_b64 v[9:10], v[19:20], off
	s_waitcnt vmcnt(3)
	v_add_f64 v[3:4], v[3:4], v[5:6]
	v_add_co_u32 v5, vcc_lo, 0xa000, v1
	v_add_co_ci_u32_e32 v6, vcc_lo, 0, v2, vcc_lo
	global_load_b64 v[5:6], v[5:6], off offset:2048
	v_add_f64 v[3:4], v[3:4], v[7:8]
	v_add_co_u32 v7, vcc_lo, v1, 0xc000
	v_add_co_ci_u32_e32 v8, vcc_lo, 0, v2, vcc_lo
	global_load_b64 v[19:20], v[7:8], off offset:-4096
	v_add_f64 v[3:4], v[3:4], v[13:14]
	v_add_co_u32 v13, vcc_lo, 0xb000, v1
	v_add_co_ci_u32_e32 v14, vcc_lo, 0, v2, vcc_lo
	global_load_b64 v[13:14], v[13:14], off offset:2048
	v_add_f64 v[3:4], v[3:4], v[17:18]
	s_delay_alu instid0(VALU_DEP_1)
	v_add_f64 v[3:4], v[3:4], v[11:12]
	v_add_co_u32 v11, vcc_lo, 0xc000, v1
	v_add_co_ci_u32_e32 v12, vcc_lo, 0, v2, vcc_lo
	global_load_b64 v[11:12], v[11:12], off offset:2048
	v_add_f64 v[3:4], v[3:4], v[15:16]
	v_add_co_u32 v15, vcc_lo, v1, 0xe000
	v_add_co_ci_u32_e32 v16, vcc_lo, 0, v2, vcc_lo
	global_load_b64 v[17:18], v[15:16], off offset:-4096
	s_waitcnt vmcnt(7)
	v_add_f64 v[3:4], v[3:4], v[21:22]
	v_add_co_u32 v21, vcc_lo, 0xd000, v1
	v_add_co_ci_u32_e32 v22, vcc_lo, 0, v2, vcc_lo
	s_clause 0x1
	global_load_b64 v[21:22], v[21:22], off offset:2048
	global_load_b64 v[15:16], v[15:16], off
	s_waitcnt vmcnt(8)
	v_add_f64 v[3:4], v[3:4], v[23:24]
	s_waitcnt vmcnt(7)
	s_delay_alu instid0(VALU_DEP_1)
	v_add_f64 v[3:4], v[3:4], v[9:10]
	v_add_co_u32 v9, vcc_lo, 0xe000, v1
	v_add_co_ci_u32_e32 v10, vcc_lo, 0, v2, vcc_lo
	s_clause 0x1
	global_load_b64 v[9:10], v[9:10], off offset:2048
	global_load_b64 v[7:8], v[7:8], off
	s_waitcnt vmcnt(8)
	v_add_f64 v[3:4], v[3:4], v[5:6]
	global_load_b64 v[5:6], v[25:26], off
	s_waitcnt vmcnt(8)
	v_add_f64 v[3:4], v[3:4], v[19:20]
	s_waitcnt vmcnt(7)
	s_delay_alu instid0(VALU_DEP_1) | instskip(SKIP_1) | instid1(VALU_DEP_1)
	v_add_f64 v[3:4], v[3:4], v[13:14]
	s_waitcnt vmcnt(1)
	v_add_f64 v[3:4], v[3:4], v[7:8]
	s_delay_alu instid0(VALU_DEP_1) | instskip(NEXT) | instid1(VALU_DEP_1)
	v_add_f64 v[3:4], v[3:4], v[11:12]
	v_add_f64 v[3:4], v[3:4], v[17:18]
	s_delay_alu instid0(VALU_DEP_1) | instskip(NEXT) | instid1(VALU_DEP_1)
	v_add_f64 v[3:4], v[3:4], v[21:22]
	v_add_f64 v[3:4], v[3:4], v[15:16]
	s_delay_alu instid0(VALU_DEP_1) | instskip(SKIP_1) | instid1(VALU_DEP_1)
	v_add_f64 v[3:4], v[3:4], v[9:10]
	s_waitcnt vmcnt(0)
	v_add_f64 v[3:4], v[3:4], v[5:6]
	s_delay_alu instid0(VALU_DEP_1) | instskip(NEXT) | instid1(VALU_DEP_1)
	v_add_f64 v[3:4], v[3:4], v[27:28]
	v_mov_b32_dpp v5, v3 quad_perm:[1,0,3,2] row_mask:0xf bank_mask:0xf
	s_delay_alu instid0(VALU_DEP_2) | instskip(NEXT) | instid1(VALU_DEP_1)
	v_mov_b32_dpp v6, v4 quad_perm:[1,0,3,2] row_mask:0xf bank_mask:0xf
	v_add_f64 v[3:4], v[3:4], v[5:6]
	s_delay_alu instid0(VALU_DEP_1) | instskip(NEXT) | instid1(VALU_DEP_2)
	v_mov_b32_dpp v5, v3 quad_perm:[2,3,0,1] row_mask:0xf bank_mask:0xf
	v_mov_b32_dpp v6, v4 quad_perm:[2,3,0,1] row_mask:0xf bank_mask:0xf
	s_delay_alu instid0(VALU_DEP_1) | instskip(NEXT) | instid1(VALU_DEP_1)
	v_add_f64 v[3:4], v[3:4], v[5:6]
	v_mov_b32_dpp v5, v3 row_ror:4 row_mask:0xf bank_mask:0xf
	s_delay_alu instid0(VALU_DEP_2) | instskip(NEXT) | instid1(VALU_DEP_1)
	v_mov_b32_dpp v6, v4 row_ror:4 row_mask:0xf bank_mask:0xf
	v_add_f64 v[3:4], v[3:4], v[5:6]
	s_delay_alu instid0(VALU_DEP_1) | instskip(NEXT) | instid1(VALU_DEP_2)
	v_mov_b32_dpp v5, v3 row_ror:8 row_mask:0xf bank_mask:0xf
	v_mov_b32_dpp v6, v4 row_ror:8 row_mask:0xf bank_mask:0xf
	s_delay_alu instid0(VALU_DEP_1)
	v_add_f64 v[3:4], v[3:4], v[5:6]
	ds_swizzle_b32 v5, v3 offset:swizzle(BROADCAST,32,15)
	ds_swizzle_b32 v6, v4 offset:swizzle(BROADCAST,32,15)
	s_waitcnt lgkmcnt(0)
	v_add_f64 v[3:4], v[3:4], v[5:6]
	v_mov_b32_e32 v5, 0
	ds_bpermute_b32 v3, v5, v3 offset:124
	ds_bpermute_b32 v4, v5, v4 offset:124
	v_cmpx_eq_u32_e32 0, v67
	s_cbranch_execz .LBB3_3
; %bb.2:
	v_lshrrev_b32_e32 v5, 2, v0
	s_delay_alu instid0(VALU_DEP_1)
	v_and_b32_e32 v5, 56, v5
	s_waitcnt lgkmcnt(0)
	ds_store_b64 v5, v[3:4]
.LBB3_3:
	s_or_b32 exec_lo, exec_lo, s1
	s_delay_alu instid0(SALU_CYCLE_1)
	s_mov_b32 s1, exec_lo
	s_waitcnt lgkmcnt(0)
	s_barrier
	buffer_gl0_inv
	v_cmpx_gt_u32_e32 32, v0
	s_cbranch_execz .LBB3_5
; %bb.4:
	v_and_b32_e32 v7, 7, v67
	s_delay_alu instid0(VALU_DEP_1) | instskip(SKIP_4) | instid1(VALU_DEP_2)
	v_lshlrev_b32_e32 v3, 3, v7
	v_cmp_ne_u32_e32 vcc_lo, 7, v7
	ds_load_b64 v[3:4], v3
	v_add_co_ci_u32_e32 v5, vcc_lo, 0, v67, vcc_lo
	v_cmp_gt_u32_e32 vcc_lo, 6, v7
	v_lshlrev_b32_e32 v6, 2, v5
	s_waitcnt lgkmcnt(0)
	ds_bpermute_b32 v5, v6, v3
	ds_bpermute_b32 v6, v6, v4
	s_waitcnt lgkmcnt(0)
	v_add_f64 v[3:4], v[3:4], v[5:6]
	v_cndmask_b32_e64 v5, 0, 1, vcc_lo
	v_cmp_gt_u32_e32 vcc_lo, 4, v7
	s_delay_alu instid0(VALU_DEP_2) | instskip(NEXT) | instid1(VALU_DEP_1)
	v_lshlrev_b32_e32 v5, 1, v5
	v_add_lshl_u32 v6, v5, v67, 2
	ds_bpermute_b32 v5, v6, v3
	ds_bpermute_b32 v6, v6, v4
	s_waitcnt lgkmcnt(0)
	v_add_f64 v[3:4], v[3:4], v[5:6]
	v_cndmask_b32_e64 v5, 0, 1, vcc_lo
	s_delay_alu instid0(VALU_DEP_1) | instskip(NEXT) | instid1(VALU_DEP_1)
	v_lshlrev_b32_e32 v5, 2, v5
	v_add_lshl_u32 v6, v5, v67, 2
	ds_bpermute_b32 v5, v6, v3
	ds_bpermute_b32 v6, v6, v4
	s_waitcnt lgkmcnt(0)
	v_add_f64 v[3:4], v[3:4], v[5:6]
.LBB3_5:
	s_or_b32 exec_lo, exec_lo, s1
	s_branch .LBB3_92
.LBB3_6:
                                        ; implicit-def: $vgpr3_vgpr4
	s_cbranch_execz .LBB3_92
; %bb.7:
	s_sub_i32 s31, s38, s0
	s_mov_b32 s0, exec_lo
                                        ; implicit-def: $vgpr3_vgpr4
	v_cmpx_gt_u32_e64 s31, v0
	s_cbranch_execz .LBB3_9
; %bb.8:
	global_load_b64 v[3:4], v[1:2], off
.LBB3_9:
	s_or_b32 exec_lo, exec_lo, s0
	v_or_b32_e32 v5, 0x100, v0
	s_delay_alu instid0(VALU_DEP_1)
	v_cmp_gt_u32_e32 vcc_lo, s31, v5
                                        ; implicit-def: $vgpr5_vgpr6
	s_and_saveexec_b32 s0, vcc_lo
	s_cbranch_execz .LBB3_11
; %bb.10:
	global_load_b64 v[5:6], v[1:2], off offset:2048
.LBB3_11:
	s_or_b32 exec_lo, exec_lo, s0
	v_or_b32_e32 v7, 0x200, v0
	s_delay_alu instid0(VALU_DEP_1) | instskip(NEXT) | instid1(VALU_DEP_1)
	v_cmp_gt_u32_e64 s0, s31, v7
                                        ; implicit-def: $vgpr7_vgpr8
	s_and_saveexec_b32 s2, s0
	s_cbranch_execz .LBB3_13
; %bb.12:
	v_add_co_u32 v7, s1, 0x1000, v1
	s_delay_alu instid0(VALU_DEP_1)
	v_add_co_ci_u32_e64 v8, s1, 0, v2, s1
	global_load_b64 v[7:8], v[7:8], off
.LBB3_13:
	s_or_b32 exec_lo, exec_lo, s2
	v_or_b32_e32 v9, 0x300, v0
	s_delay_alu instid0(VALU_DEP_1) | instskip(NEXT) | instid1(VALU_DEP_1)
	v_cmp_gt_u32_e64 s1, s31, v9
                                        ; implicit-def: $vgpr9_vgpr10
	s_and_saveexec_b32 s3, s1
	s_cbranch_execz .LBB3_15
; %bb.14:
	v_add_co_u32 v9, s2, 0x1000, v1
	s_delay_alu instid0(VALU_DEP_1)
	v_add_co_ci_u32_e64 v10, s2, 0, v2, s2
	global_load_b64 v[9:10], v[9:10], off offset:2048
.LBB3_15:
	s_or_b32 exec_lo, exec_lo, s3
	v_or_b32_e32 v11, 0x400, v0
	s_delay_alu instid0(VALU_DEP_1) | instskip(NEXT) | instid1(VALU_DEP_1)
	v_cmp_gt_u32_e64 s2, s31, v11
                                        ; implicit-def: $vgpr11_vgpr12
	s_and_saveexec_b32 s4, s2
	s_cbranch_execz .LBB3_17
; %bb.16:
	v_add_co_u32 v11, s3, 0x2000, v1
	s_delay_alu instid0(VALU_DEP_1)
	v_add_co_ci_u32_e64 v12, s3, 0, v2, s3
	global_load_b64 v[11:12], v[11:12], off
.LBB3_17:
	s_or_b32 exec_lo, exec_lo, s4
	v_or_b32_e32 v13, 0x500, v0
	s_delay_alu instid0(VALU_DEP_1) | instskip(NEXT) | instid1(VALU_DEP_1)
	v_cmp_gt_u32_e64 s3, s31, v13
                                        ; implicit-def: $vgpr13_vgpr14
	s_and_saveexec_b32 s5, s3
	s_cbranch_execz .LBB3_19
; %bb.18:
	v_add_co_u32 v13, s4, 0x2000, v1
	s_delay_alu instid0(VALU_DEP_1)
	v_add_co_ci_u32_e64 v14, s4, 0, v2, s4
	global_load_b64 v[13:14], v[13:14], off offset:2048
.LBB3_19:
	s_or_b32 exec_lo, exec_lo, s5
	v_or_b32_e32 v15, 0x600, v0
	s_delay_alu instid0(VALU_DEP_1) | instskip(NEXT) | instid1(VALU_DEP_1)
	v_cmp_gt_u32_e64 s4, s31, v15
                                        ; implicit-def: $vgpr15_vgpr16
	s_and_saveexec_b32 s6, s4
	s_cbranch_execz .LBB3_21
; %bb.20:
	v_add_co_u32 v15, s5, 0x3000, v1
	s_delay_alu instid0(VALU_DEP_1)
	v_add_co_ci_u32_e64 v16, s5, 0, v2, s5
	global_load_b64 v[15:16], v[15:16], off
.LBB3_21:
	s_or_b32 exec_lo, exec_lo, s6
	v_or_b32_e32 v17, 0x700, v0
	s_delay_alu instid0(VALU_DEP_1) | instskip(NEXT) | instid1(VALU_DEP_1)
	v_cmp_gt_u32_e64 s5, s31, v17
                                        ; implicit-def: $vgpr17_vgpr18
	s_and_saveexec_b32 s7, s5
	s_cbranch_execz .LBB3_23
; %bb.22:
	v_add_co_u32 v17, s6, 0x3000, v1
	s_delay_alu instid0(VALU_DEP_1)
	v_add_co_ci_u32_e64 v18, s6, 0, v2, s6
	global_load_b64 v[17:18], v[17:18], off offset:2048
.LBB3_23:
	s_or_b32 exec_lo, exec_lo, s7
	v_or_b32_e32 v19, 0x800, v0
	s_delay_alu instid0(VALU_DEP_1) | instskip(NEXT) | instid1(VALU_DEP_1)
	v_cmp_gt_u32_e64 s6, s31, v19
                                        ; implicit-def: $vgpr19_vgpr20
	s_and_saveexec_b32 s8, s6
	s_cbranch_execz .LBB3_25
; %bb.24:
	v_add_co_u32 v19, s7, 0x4000, v1
	s_delay_alu instid0(VALU_DEP_1)
	v_add_co_ci_u32_e64 v20, s7, 0, v2, s7
	global_load_b64 v[19:20], v[19:20], off
.LBB3_25:
	s_or_b32 exec_lo, exec_lo, s8
	v_or_b32_e32 v21, 0x900, v0
	s_delay_alu instid0(VALU_DEP_1) | instskip(NEXT) | instid1(VALU_DEP_1)
	v_cmp_gt_u32_e64 s7, s31, v21
                                        ; implicit-def: $vgpr21_vgpr22
	s_and_saveexec_b32 s9, s7
	s_cbranch_execz .LBB3_27
; %bb.26:
	v_add_co_u32 v21, s8, 0x4000, v1
	s_delay_alu instid0(VALU_DEP_1)
	v_add_co_ci_u32_e64 v22, s8, 0, v2, s8
	global_load_b64 v[21:22], v[21:22], off offset:2048
.LBB3_27:
	s_or_b32 exec_lo, exec_lo, s9
	v_or_b32_e32 v23, 0xa00, v0
	s_delay_alu instid0(VALU_DEP_1) | instskip(NEXT) | instid1(VALU_DEP_1)
	v_cmp_gt_u32_e64 s8, s31, v23
                                        ; implicit-def: $vgpr23_vgpr24
	s_and_saveexec_b32 s10, s8
	s_cbranch_execz .LBB3_29
; %bb.28:
	v_add_co_u32 v23, s9, 0x5000, v1
	s_delay_alu instid0(VALU_DEP_1)
	v_add_co_ci_u32_e64 v24, s9, 0, v2, s9
	global_load_b64 v[23:24], v[23:24], off
.LBB3_29:
	s_or_b32 exec_lo, exec_lo, s10
	v_or_b32_e32 v25, 0xb00, v0
	s_delay_alu instid0(VALU_DEP_1) | instskip(NEXT) | instid1(VALU_DEP_1)
	v_cmp_gt_u32_e64 s9, s31, v25
                                        ; implicit-def: $vgpr25_vgpr26
	s_and_saveexec_b32 s11, s9
	s_cbranch_execz .LBB3_31
; %bb.30:
	v_add_co_u32 v25, s10, 0x5000, v1
	s_delay_alu instid0(VALU_DEP_1)
	v_add_co_ci_u32_e64 v26, s10, 0, v2, s10
	global_load_b64 v[25:26], v[25:26], off offset:2048
.LBB3_31:
	s_or_b32 exec_lo, exec_lo, s11
	v_or_b32_e32 v27, 0xc00, v0
	s_delay_alu instid0(VALU_DEP_1) | instskip(NEXT) | instid1(VALU_DEP_1)
	v_cmp_gt_u32_e64 s10, s31, v27
                                        ; implicit-def: $vgpr27_vgpr28
	s_and_saveexec_b32 s12, s10
	s_cbranch_execz .LBB3_33
; %bb.32:
	v_add_co_u32 v27, s11, 0x6000, v1
	s_delay_alu instid0(VALU_DEP_1)
	v_add_co_ci_u32_e64 v28, s11, 0, v2, s11
	global_load_b64 v[27:28], v[27:28], off
.LBB3_33:
	s_or_b32 exec_lo, exec_lo, s12
	v_or_b32_e32 v29, 0xd00, v0
	s_delay_alu instid0(VALU_DEP_1) | instskip(NEXT) | instid1(VALU_DEP_1)
	v_cmp_gt_u32_e64 s11, s31, v29
                                        ; implicit-def: $vgpr29_vgpr30
	s_and_saveexec_b32 s13, s11
	s_cbranch_execz .LBB3_35
; %bb.34:
	v_add_co_u32 v29, s12, 0x6000, v1
	s_delay_alu instid0(VALU_DEP_1)
	v_add_co_ci_u32_e64 v30, s12, 0, v2, s12
	global_load_b64 v[29:30], v[29:30], off offset:2048
.LBB3_35:
	s_or_b32 exec_lo, exec_lo, s13
	v_or_b32_e32 v31, 0xe00, v0
	s_delay_alu instid0(VALU_DEP_1) | instskip(NEXT) | instid1(VALU_DEP_1)
	v_cmp_gt_u32_e64 s12, s31, v31
                                        ; implicit-def: $vgpr31_vgpr32
	s_and_saveexec_b32 s14, s12
	s_cbranch_execz .LBB3_37
; %bb.36:
	v_add_co_u32 v31, s13, 0x7000, v1
	s_delay_alu instid0(VALU_DEP_1)
	v_add_co_ci_u32_e64 v32, s13, 0, v2, s13
	global_load_b64 v[31:32], v[31:32], off
.LBB3_37:
	s_or_b32 exec_lo, exec_lo, s14
	v_or_b32_e32 v33, 0xf00, v0
	s_delay_alu instid0(VALU_DEP_1) | instskip(NEXT) | instid1(VALU_DEP_1)
	v_cmp_gt_u32_e64 s13, s31, v33
                                        ; implicit-def: $vgpr33_vgpr34
	s_and_saveexec_b32 s15, s13
	s_cbranch_execz .LBB3_39
; %bb.38:
	v_add_co_u32 v33, s14, 0x7000, v1
	s_delay_alu instid0(VALU_DEP_1)
	v_add_co_ci_u32_e64 v34, s14, 0, v2, s14
	global_load_b64 v[33:34], v[33:34], off offset:2048
.LBB3_39:
	s_or_b32 exec_lo, exec_lo, s15
	v_or_b32_e32 v35, 0x1000, v0
	s_delay_alu instid0(VALU_DEP_1) | instskip(NEXT) | instid1(VALU_DEP_1)
	v_cmp_gt_u32_e64 s14, s31, v35
                                        ; implicit-def: $vgpr35_vgpr36
	s_and_saveexec_b32 s16, s14
	s_cbranch_execz .LBB3_41
; %bb.40:
	v_add_co_u32 v35, s15, 0x8000, v1
	s_delay_alu instid0(VALU_DEP_1)
	v_add_co_ci_u32_e64 v36, s15, 0, v2, s15
	global_load_b64 v[35:36], v[35:36], off
.LBB3_41:
	s_or_b32 exec_lo, exec_lo, s16
	v_or_b32_e32 v37, 0x1100, v0
	s_delay_alu instid0(VALU_DEP_1) | instskip(NEXT) | instid1(VALU_DEP_1)
	v_cmp_gt_u32_e64 s15, s31, v37
                                        ; implicit-def: $vgpr37_vgpr38
	s_and_saveexec_b32 s17, s15
	s_cbranch_execz .LBB3_43
; %bb.42:
	v_add_co_u32 v37, s16, 0x8000, v1
	s_delay_alu instid0(VALU_DEP_1)
	v_add_co_ci_u32_e64 v38, s16, 0, v2, s16
	global_load_b64 v[37:38], v[37:38], off offset:2048
.LBB3_43:
	s_or_b32 exec_lo, exec_lo, s17
	v_or_b32_e32 v39, 0x1200, v0
	s_delay_alu instid0(VALU_DEP_1) | instskip(NEXT) | instid1(VALU_DEP_1)
	v_cmp_gt_u32_e64 s16, s31, v39
                                        ; implicit-def: $vgpr39_vgpr40
	s_and_saveexec_b32 s18, s16
	s_cbranch_execz .LBB3_45
; %bb.44:
	v_add_co_u32 v39, s17, 0x9000, v1
	s_delay_alu instid0(VALU_DEP_1)
	v_add_co_ci_u32_e64 v40, s17, 0, v2, s17
	global_load_b64 v[39:40], v[39:40], off
.LBB3_45:
	s_or_b32 exec_lo, exec_lo, s18
	v_or_b32_e32 v41, 0x1300, v0
	s_delay_alu instid0(VALU_DEP_1) | instskip(NEXT) | instid1(VALU_DEP_1)
	v_cmp_gt_u32_e64 s17, s31, v41
                                        ; implicit-def: $vgpr41_vgpr42
	s_and_saveexec_b32 s19, s17
	s_cbranch_execz .LBB3_47
; %bb.46:
	v_add_co_u32 v41, s18, 0x9000, v1
	s_delay_alu instid0(VALU_DEP_1)
	v_add_co_ci_u32_e64 v42, s18, 0, v2, s18
	global_load_b64 v[41:42], v[41:42], off offset:2048
.LBB3_47:
	s_or_b32 exec_lo, exec_lo, s19
	v_or_b32_e32 v43, 0x1400, v0
	s_delay_alu instid0(VALU_DEP_1) | instskip(NEXT) | instid1(VALU_DEP_1)
	v_cmp_gt_u32_e64 s18, s31, v43
                                        ; implicit-def: $vgpr43_vgpr44
	s_and_saveexec_b32 s20, s18
	s_cbranch_execz .LBB3_49
; %bb.48:
	v_add_co_u32 v43, s19, 0xa000, v1
	s_delay_alu instid0(VALU_DEP_1)
	v_add_co_ci_u32_e64 v44, s19, 0, v2, s19
	global_load_b64 v[43:44], v[43:44], off
.LBB3_49:
	s_or_b32 exec_lo, exec_lo, s20
	v_or_b32_e32 v45, 0x1500, v0
	s_delay_alu instid0(VALU_DEP_1) | instskip(NEXT) | instid1(VALU_DEP_1)
	v_cmp_gt_u32_e64 s19, s31, v45
                                        ; implicit-def: $vgpr45_vgpr46
	s_and_saveexec_b32 s21, s19
	s_cbranch_execz .LBB3_51
; %bb.50:
	v_add_co_u32 v45, s20, 0xa000, v1
	s_delay_alu instid0(VALU_DEP_1)
	v_add_co_ci_u32_e64 v46, s20, 0, v2, s20
	global_load_b64 v[45:46], v[45:46], off offset:2048
.LBB3_51:
	s_or_b32 exec_lo, exec_lo, s21
	v_or_b32_e32 v47, 0x1600, v0
	s_delay_alu instid0(VALU_DEP_1) | instskip(NEXT) | instid1(VALU_DEP_1)
	v_cmp_gt_u32_e64 s20, s31, v47
                                        ; implicit-def: $vgpr47_vgpr48
	s_and_saveexec_b32 s22, s20
	s_cbranch_execz .LBB3_53
; %bb.52:
	v_add_co_u32 v47, s21, 0xb000, v1
	s_delay_alu instid0(VALU_DEP_1)
	v_add_co_ci_u32_e64 v48, s21, 0, v2, s21
	global_load_b64 v[47:48], v[47:48], off
.LBB3_53:
	s_or_b32 exec_lo, exec_lo, s22
	v_or_b32_e32 v49, 0x1700, v0
	s_delay_alu instid0(VALU_DEP_1) | instskip(NEXT) | instid1(VALU_DEP_1)
	v_cmp_gt_u32_e64 s21, s31, v49
                                        ; implicit-def: $vgpr49_vgpr50
	s_and_saveexec_b32 s23, s21
	s_cbranch_execz .LBB3_55
; %bb.54:
	v_add_co_u32 v49, s22, 0xb000, v1
	s_delay_alu instid0(VALU_DEP_1)
	v_add_co_ci_u32_e64 v50, s22, 0, v2, s22
	global_load_b64 v[49:50], v[49:50], off offset:2048
.LBB3_55:
	s_or_b32 exec_lo, exec_lo, s23
	v_or_b32_e32 v51, 0x1800, v0
	s_delay_alu instid0(VALU_DEP_1) | instskip(NEXT) | instid1(VALU_DEP_1)
	v_cmp_gt_u32_e64 s22, s31, v51
                                        ; implicit-def: $vgpr51_vgpr52
	s_and_saveexec_b32 s24, s22
	s_cbranch_execz .LBB3_57
; %bb.56:
	v_add_co_u32 v51, s23, 0xc000, v1
	s_delay_alu instid0(VALU_DEP_1)
	v_add_co_ci_u32_e64 v52, s23, 0, v2, s23
	global_load_b64 v[51:52], v[51:52], off
.LBB3_57:
	s_or_b32 exec_lo, exec_lo, s24
	v_or_b32_e32 v53, 0x1900, v0
	s_delay_alu instid0(VALU_DEP_1) | instskip(NEXT) | instid1(VALU_DEP_1)
	v_cmp_gt_u32_e64 s23, s31, v53
                                        ; implicit-def: $vgpr53_vgpr54
	s_and_saveexec_b32 s25, s23
	s_cbranch_execz .LBB3_59
; %bb.58:
	v_add_co_u32 v53, s24, 0xc000, v1
	s_delay_alu instid0(VALU_DEP_1)
	v_add_co_ci_u32_e64 v54, s24, 0, v2, s24
	global_load_b64 v[53:54], v[53:54], off offset:2048
.LBB3_59:
	s_or_b32 exec_lo, exec_lo, s25
	v_or_b32_e32 v55, 0x1a00, v0
	s_delay_alu instid0(VALU_DEP_1) | instskip(NEXT) | instid1(VALU_DEP_1)
	v_cmp_gt_u32_e64 s24, s31, v55
                                        ; implicit-def: $vgpr55_vgpr56
	s_and_saveexec_b32 s26, s24
	s_cbranch_execz .LBB3_61
; %bb.60:
	v_add_co_u32 v55, s25, 0xd000, v1
	s_delay_alu instid0(VALU_DEP_1)
	v_add_co_ci_u32_e64 v56, s25, 0, v2, s25
	global_load_b64 v[55:56], v[55:56], off
.LBB3_61:
	s_or_b32 exec_lo, exec_lo, s26
	v_or_b32_e32 v57, 0x1b00, v0
	s_delay_alu instid0(VALU_DEP_1) | instskip(NEXT) | instid1(VALU_DEP_1)
	v_cmp_gt_u32_e64 s25, s31, v57
                                        ; implicit-def: $vgpr57_vgpr58
	s_and_saveexec_b32 s27, s25
	s_cbranch_execz .LBB3_63
; %bb.62:
	v_add_co_u32 v57, s26, 0xd000, v1
	s_delay_alu instid0(VALU_DEP_1)
	v_add_co_ci_u32_e64 v58, s26, 0, v2, s26
	global_load_b64 v[57:58], v[57:58], off offset:2048
.LBB3_63:
	s_or_b32 exec_lo, exec_lo, s27
	v_or_b32_e32 v59, 0x1c00, v0
	s_delay_alu instid0(VALU_DEP_1) | instskip(NEXT) | instid1(VALU_DEP_1)
	v_cmp_gt_u32_e64 s26, s31, v59
                                        ; implicit-def: $vgpr59_vgpr60
	s_and_saveexec_b32 s28, s26
	s_cbranch_execz .LBB3_65
; %bb.64:
	v_add_co_u32 v59, s27, 0xe000, v1
	s_delay_alu instid0(VALU_DEP_1)
	v_add_co_ci_u32_e64 v60, s27, 0, v2, s27
	global_load_b64 v[59:60], v[59:60], off
.LBB3_65:
	s_or_b32 exec_lo, exec_lo, s28
	v_or_b32_e32 v61, 0x1d00, v0
	s_delay_alu instid0(VALU_DEP_1) | instskip(NEXT) | instid1(VALU_DEP_1)
	v_cmp_gt_u32_e64 s27, s31, v61
                                        ; implicit-def: $vgpr61_vgpr62
	s_and_saveexec_b32 s29, s27
	s_cbranch_execz .LBB3_67
; %bb.66:
	v_add_co_u32 v61, s28, 0xe000, v1
	s_delay_alu instid0(VALU_DEP_1)
	v_add_co_ci_u32_e64 v62, s28, 0, v2, s28
	global_load_b64 v[61:62], v[61:62], off offset:2048
.LBB3_67:
	s_or_b32 exec_lo, exec_lo, s29
	v_or_b32_e32 v63, 0x1e00, v0
	s_delay_alu instid0(VALU_DEP_1) | instskip(NEXT) | instid1(VALU_DEP_1)
	v_cmp_gt_u32_e64 s28, s31, v63
                                        ; implicit-def: $vgpr63_vgpr64
	s_and_saveexec_b32 s30, s28
	s_cbranch_execz .LBB3_69
; %bb.68:
	v_add_co_u32 v63, s29, 0xf000, v1
	s_delay_alu instid0(VALU_DEP_1)
	v_add_co_ci_u32_e64 v64, s29, 0, v2, s29
	global_load_b64 v[63:64], v[63:64], off
.LBB3_69:
	s_or_b32 exec_lo, exec_lo, s30
	v_or_b32_e32 v65, 0x1f00, v0
	s_delay_alu instid0(VALU_DEP_1) | instskip(NEXT) | instid1(VALU_DEP_1)
	v_cmp_gt_u32_e64 s29, s31, v65
                                        ; implicit-def: $vgpr65_vgpr66
	s_and_saveexec_b32 s33, s29
	s_cbranch_execz .LBB3_71
; %bb.70:
	v_add_co_u32 v1, s30, 0xf000, v1
	s_delay_alu instid0(VALU_DEP_1)
	v_add_co_ci_u32_e64 v2, s30, 0, v2, s30
	global_load_b64 v[65:66], v[1:2], off offset:2048
.LBB3_71:
	s_or_b32 exec_lo, exec_lo, s33
	s_waitcnt vmcnt(0)
	v_add_f64 v[1:2], v[3:4], v[5:6]
	v_add_nc_u32_e32 v6, 1, v67
	s_delay_alu instid0(VALU_DEP_2) | instskip(SKIP_1) | instid1(VALU_DEP_2)
	v_dual_cndmask_b32 v2, v4, v2 :: v_dual_cndmask_b32 v1, v3, v1
	v_cmp_ne_u32_e32 vcc_lo, 31, v67
	v_add_f64 v[3:4], v[1:2], v[7:8]
	v_add_co_ci_u32_e32 v5, vcc_lo, 0, v67, vcc_lo
	s_delay_alu instid0(VALU_DEP_1) | instskip(NEXT) | instid1(VALU_DEP_3)
	v_lshlrev_b32_e32 v5, 2, v5
	v_cndmask_b32_e64 v2, v2, v4, s0
	s_delay_alu instid0(VALU_DEP_4) | instskip(SKIP_1) | instid1(VALU_DEP_1)
	v_cndmask_b32_e64 v1, v1, v3, s0
	s_min_u32 s0, s31, 0x100
	v_add_f64 v[3:4], v[1:2], v[9:10]
	s_delay_alu instid0(VALU_DEP_1) | instskip(NEXT) | instid1(VALU_DEP_2)
	v_cndmask_b32_e64 v2, v2, v4, s1
	v_cndmask_b32_e64 v1, v1, v3, s1
	s_mov_b32 s1, exec_lo
	s_delay_alu instid0(VALU_DEP_1) | instskip(NEXT) | instid1(VALU_DEP_1)
	v_add_f64 v[3:4], v[1:2], v[11:12]
	v_cndmask_b32_e64 v2, v2, v4, s2
	s_delay_alu instid0(VALU_DEP_2) | instskip(NEXT) | instid1(VALU_DEP_1)
	v_cndmask_b32_e64 v1, v1, v3, s2
	v_add_f64 v[3:4], v[1:2], v[13:14]
	s_delay_alu instid0(VALU_DEP_1) | instskip(NEXT) | instid1(VALU_DEP_2)
	v_cndmask_b32_e64 v2, v2, v4, s3
	v_cndmask_b32_e64 v1, v1, v3, s3
	s_delay_alu instid0(VALU_DEP_1) | instskip(NEXT) | instid1(VALU_DEP_1)
	v_add_f64 v[3:4], v[1:2], v[15:16]
	v_cndmask_b32_e64 v2, v2, v4, s4
	s_delay_alu instid0(VALU_DEP_2) | instskip(NEXT) | instid1(VALU_DEP_1)
	v_cndmask_b32_e64 v1, v1, v3, s4
	v_add_f64 v[3:4], v[1:2], v[17:18]
	s_delay_alu instid0(VALU_DEP_1) | instskip(NEXT) | instid1(VALU_DEP_2)
	v_cndmask_b32_e64 v2, v2, v4, s5
	v_cndmask_b32_e64 v1, v1, v3, s5
	;; [unrolled: 9-line block ×14, first 2 shown]
	ds_bpermute_b32 v1, v5, v3
	ds_bpermute_b32 v2, v5, v4
	v_and_b32_e32 v5, 0xe0, v0
	s_delay_alu instid0(VALU_DEP_1) | instskip(NEXT) | instid1(VALU_DEP_1)
	v_sub_nc_u32_e64 v5, s0, v5 clamp
	v_cmpx_lt_u32_e64 v6, v5
	s_cbranch_execz .LBB3_73
; %bb.72:
	s_waitcnt lgkmcnt(0)
	v_add_f64 v[3:4], v[3:4], v[1:2]
.LBB3_73:
	s_or_b32 exec_lo, exec_lo, s1
	v_cmp_gt_u32_e32 vcc_lo, 30, v67
	v_add_nc_u32_e32 v6, 2, v67
	s_mov_b32 s1, exec_lo
	s_waitcnt lgkmcnt(1)
	v_cndmask_b32_e64 v1, 0, 1, vcc_lo
	s_delay_alu instid0(VALU_DEP_1) | instskip(SKIP_1) | instid1(VALU_DEP_1)
	v_lshlrev_b32_e32 v1, 1, v1
	s_waitcnt lgkmcnt(0)
	v_add_lshl_u32 v2, v1, v67, 2
	ds_bpermute_b32 v1, v2, v3
	ds_bpermute_b32 v2, v2, v4
	v_cmpx_lt_u32_e64 v6, v5
	s_cbranch_execz .LBB3_75
; %bb.74:
	s_waitcnt lgkmcnt(0)
	v_add_f64 v[3:4], v[3:4], v[1:2]
.LBB3_75:
	s_or_b32 exec_lo, exec_lo, s1
	v_cmp_gt_u32_e32 vcc_lo, 28, v67
	v_add_nc_u32_e32 v6, 4, v67
	s_mov_b32 s1, exec_lo
	s_waitcnt lgkmcnt(1)
	v_cndmask_b32_e64 v1, 0, 1, vcc_lo
	s_delay_alu instid0(VALU_DEP_1) | instskip(SKIP_1) | instid1(VALU_DEP_1)
	v_lshlrev_b32_e32 v1, 2, v1
	s_waitcnt lgkmcnt(0)
	v_add_lshl_u32 v2, v1, v67, 2
	ds_bpermute_b32 v1, v2, v3
	ds_bpermute_b32 v2, v2, v4
	;; [unrolled: 18-line block ×4, first 2 shown]
	v_cmpx_lt_u32_e64 v6, v5
	s_cbranch_execz .LBB3_81
; %bb.80:
	s_waitcnt lgkmcnt(0)
	v_add_f64 v[3:4], v[3:4], v[1:2]
.LBB3_81:
	s_or_b32 exec_lo, exec_lo, s1
	s_delay_alu instid0(SALU_CYCLE_1)
	s_mov_b32 s1, exec_lo
	v_cmpx_eq_u32_e32 0, v67
	s_cbranch_execz .LBB3_83
; %bb.82:
	s_waitcnt lgkmcnt(1)
	v_lshrrev_b32_e32 v1, 2, v0
	s_delay_alu instid0(VALU_DEP_1)
	v_and_b32_e32 v1, 56, v1
	ds_store_b64 v1, v[3:4] offset:64
.LBB3_83:
	s_or_b32 exec_lo, exec_lo, s1
	s_delay_alu instid0(SALU_CYCLE_1)
	s_mov_b32 s1, exec_lo
	s_waitcnt lgkmcnt(0)
	s_barrier
	buffer_gl0_inv
	v_cmpx_gt_u32_e32 8, v0
	s_cbranch_execz .LBB3_91
; %bb.84:
	v_lshlrev_b32_e32 v1, 3, v67
	v_and_b32_e32 v5, 7, v67
	s_add_i32 s0, s0, 31
	s_mov_b32 s2, exec_lo
	s_lshr_b32 s0, s0, 5
	ds_load_b64 v[3:4], v1 offset:64
	v_cmp_ne_u32_e32 vcc_lo, 7, v5
	v_add_nc_u32_e32 v6, 1, v5
	v_add_co_ci_u32_e32 v1, vcc_lo, 0, v67, vcc_lo
	s_delay_alu instid0(VALU_DEP_1)
	v_lshlrev_b32_e32 v2, 2, v1
	s_waitcnt lgkmcnt(0)
	ds_bpermute_b32 v1, v2, v3
	ds_bpermute_b32 v2, v2, v4
	v_cmpx_gt_u32_e64 s0, v6
	s_cbranch_execz .LBB3_86
; %bb.85:
	s_waitcnt lgkmcnt(0)
	v_add_f64 v[3:4], v[3:4], v[1:2]
.LBB3_86:
	s_or_b32 exec_lo, exec_lo, s2
	v_cmp_gt_u32_e32 vcc_lo, 6, v5
	v_add_nc_u32_e32 v6, 2, v5
	s_mov_b32 s2, exec_lo
	s_waitcnt lgkmcnt(1)
	v_cndmask_b32_e64 v1, 0, 1, vcc_lo
	s_delay_alu instid0(VALU_DEP_1) | instskip(SKIP_1) | instid1(VALU_DEP_1)
	v_lshlrev_b32_e32 v1, 1, v1
	s_waitcnt lgkmcnt(0)
	v_add_lshl_u32 v2, v1, v67, 2
	ds_bpermute_b32 v1, v2, v3
	ds_bpermute_b32 v2, v2, v4
	v_cmpx_gt_u32_e64 s0, v6
	s_cbranch_execz .LBB3_88
; %bb.87:
	s_waitcnt lgkmcnt(0)
	v_add_f64 v[3:4], v[3:4], v[1:2]
.LBB3_88:
	s_or_b32 exec_lo, exec_lo, s2
	v_cmp_gt_u32_e32 vcc_lo, 4, v5
	v_add_nc_u32_e32 v5, 4, v5
	s_waitcnt lgkmcnt(1)
	v_cndmask_b32_e64 v1, 0, 1, vcc_lo
	s_delay_alu instid0(VALU_DEP_2) | instskip(NEXT) | instid1(VALU_DEP_2)
	v_cmp_gt_u32_e32 vcc_lo, s0, v5
	v_lshlrev_b32_e32 v1, 2, v1
	s_waitcnt lgkmcnt(0)
	s_delay_alu instid0(VALU_DEP_1)
	v_add_lshl_u32 v2, v1, v67, 2
	ds_bpermute_b32 v1, v2, v3
	ds_bpermute_b32 v2, v2, v4
	s_and_saveexec_b32 s0, vcc_lo
	s_cbranch_execz .LBB3_90
; %bb.89:
	s_waitcnt lgkmcnt(0)
	v_add_f64 v[3:4], v[3:4], v[1:2]
.LBB3_90:
	s_or_b32 exec_lo, exec_lo, s0
.LBB3_91:
	s_delay_alu instid0(SALU_CYCLE_1)
	s_or_b32 exec_lo, exec_lo, s1
.LBB3_92:
	s_delay_alu instid0(SALU_CYCLE_1)
	s_mov_b32 s0, exec_lo
	v_cmpx_eq_u32_e32 0, v0
	s_cbranch_execz .LBB3_94
; %bb.93:
	s_waitcnt lgkmcnt(1)
	s_delay_alu instid0(VALU_DEP_2)
	v_add_f64 v[0:1], v[3:4], s[42:43]
	s_lshl_b64 s[0:1], s[34:35], 3
	s_waitcnt lgkmcnt(0)
	v_mov_b32_e32 v2, 0
	s_add_u32 s0, s40, s0
	s_addc_u32 s1, s41, s1
	s_cmp_eq_u64 s[38:39], 0
	s_cselect_b32 s2, -1, 0
	s_delay_alu instid0(VALU_DEP_2) | instid1(SALU_CYCLE_1)
	v_cndmask_b32_e64 v1, v1, s43, s2
	s_delay_alu instid0(VALU_DEP_3)
	v_cndmask_b32_e64 v0, v0, s42, s2
	global_store_b64 v2, v[0:1], s[0:1]
.LBB3_94:
	s_nop 0
	s_sendmsg sendmsg(MSG_DEALLOC_VGPRS)
	s_endpgm
	.section	.rodata,"a",@progbits
	.p2align	6, 0x0
	.amdhsa_kernel _ZN7rocprim6detail19block_reduce_kernelILb1ELb1ELj8ENS0_21wrapped_reduce_configINS_14default_configEdEEdPdS5_dNS_4plusIdEEEEvT4_mT5_T6_T7_
		.amdhsa_group_segment_fixed_size 128
		.amdhsa_private_segment_fixed_size 0
		.amdhsa_kernarg_size 36
		.amdhsa_user_sgpr_count 15
		.amdhsa_user_sgpr_dispatch_ptr 0
		.amdhsa_user_sgpr_queue_ptr 0
		.amdhsa_user_sgpr_kernarg_segment_ptr 1
		.amdhsa_user_sgpr_dispatch_id 0
		.amdhsa_user_sgpr_private_segment_size 0
		.amdhsa_wavefront_size32 1
		.amdhsa_uses_dynamic_stack 0
		.amdhsa_enable_private_segment 0
		.amdhsa_system_sgpr_workgroup_id_x 1
		.amdhsa_system_sgpr_workgroup_id_y 0
		.amdhsa_system_sgpr_workgroup_id_z 0
		.amdhsa_system_sgpr_workgroup_info 0
		.amdhsa_system_vgpr_workitem_id 0
		.amdhsa_next_free_vgpr 68
		.amdhsa_next_free_sgpr 44
		.amdhsa_reserve_vcc 1
		.amdhsa_float_round_mode_32 0
		.amdhsa_float_round_mode_16_64 0
		.amdhsa_float_denorm_mode_32 3
		.amdhsa_float_denorm_mode_16_64 3
		.amdhsa_dx10_clamp 1
		.amdhsa_ieee_mode 1
		.amdhsa_fp16_overflow 0
		.amdhsa_workgroup_processor_mode 1
		.amdhsa_memory_ordered 1
		.amdhsa_forward_progress 0
		.amdhsa_shared_vgpr_count 0
		.amdhsa_exception_fp_ieee_invalid_op 0
		.amdhsa_exception_fp_denorm_src 0
		.amdhsa_exception_fp_ieee_div_zero 0
		.amdhsa_exception_fp_ieee_overflow 0
		.amdhsa_exception_fp_ieee_underflow 0
		.amdhsa_exception_fp_ieee_inexact 0
		.amdhsa_exception_int_div_zero 0
	.end_amdhsa_kernel
	.section	.text._ZN7rocprim6detail19block_reduce_kernelILb1ELb1ELj8ENS0_21wrapped_reduce_configINS_14default_configEdEEdPdS5_dNS_4plusIdEEEEvT4_mT5_T6_T7_,"axG",@progbits,_ZN7rocprim6detail19block_reduce_kernelILb1ELb1ELj8ENS0_21wrapped_reduce_configINS_14default_configEdEEdPdS5_dNS_4plusIdEEEEvT4_mT5_T6_T7_,comdat
.Lfunc_end3:
	.size	_ZN7rocprim6detail19block_reduce_kernelILb1ELb1ELj8ENS0_21wrapped_reduce_configINS_14default_configEdEEdPdS5_dNS_4plusIdEEEEvT4_mT5_T6_T7_, .Lfunc_end3-_ZN7rocprim6detail19block_reduce_kernelILb1ELb1ELj8ENS0_21wrapped_reduce_configINS_14default_configEdEEdPdS5_dNS_4plusIdEEEEvT4_mT5_T6_T7_
                                        ; -- End function
	.section	.AMDGPU.csdata,"",@progbits
; Kernel info:
; codeLenInByte = 5328
; NumSgprs: 46
; NumVgprs: 68
; ScratchSize: 0
; MemoryBound: 0
; FloatMode: 240
; IeeeMode: 1
; LDSByteSize: 128 bytes/workgroup (compile time only)
; SGPRBlocks: 5
; VGPRBlocks: 8
; NumSGPRsForWavesPerEU: 46
; NumVGPRsForWavesPerEU: 68
; Occupancy: 16
; WaveLimiterHint : 1
; COMPUTE_PGM_RSRC2:SCRATCH_EN: 0
; COMPUTE_PGM_RSRC2:USER_SGPR: 15
; COMPUTE_PGM_RSRC2:TRAP_HANDLER: 0
; COMPUTE_PGM_RSRC2:TGID_X_EN: 1
; COMPUTE_PGM_RSRC2:TGID_Y_EN: 0
; COMPUTE_PGM_RSRC2:TGID_Z_EN: 0
; COMPUTE_PGM_RSRC2:TIDIG_COMP_CNT: 0
	.section	.text._ZN7rocprim6detail19block_reduce_kernelILb1ELb1ELj16ENS0_21wrapped_reduce_configINS_14default_configEdEEdPdS5_dNS_4plusIdEEEEvT4_mT5_T6_T7_,"axG",@progbits,_ZN7rocprim6detail19block_reduce_kernelILb1ELb1ELj16ENS0_21wrapped_reduce_configINS_14default_configEdEEdPdS5_dNS_4plusIdEEEEvT4_mT5_T6_T7_,comdat
	.protected	_ZN7rocprim6detail19block_reduce_kernelILb1ELb1ELj16ENS0_21wrapped_reduce_configINS_14default_configEdEEdPdS5_dNS_4plusIdEEEEvT4_mT5_T6_T7_ ; -- Begin function _ZN7rocprim6detail19block_reduce_kernelILb1ELb1ELj16ENS0_21wrapped_reduce_configINS_14default_configEdEEdPdS5_dNS_4plusIdEEEEvT4_mT5_T6_T7_
	.globl	_ZN7rocprim6detail19block_reduce_kernelILb1ELb1ELj16ENS0_21wrapped_reduce_configINS_14default_configEdEEdPdS5_dNS_4plusIdEEEEvT4_mT5_T6_T7_
	.p2align	8
	.type	_ZN7rocprim6detail19block_reduce_kernelILb1ELb1ELj16ENS0_21wrapped_reduce_configINS_14default_configEdEEdPdS5_dNS_4plusIdEEEEvT4_mT5_T6_T7_,@function
_ZN7rocprim6detail19block_reduce_kernelILb1ELb1ELj16ENS0_21wrapped_reduce_configINS_14default_configEdEEdPdS5_dNS_4plusIdEEEEvT4_mT5_T6_T7_: ; @_ZN7rocprim6detail19block_reduce_kernelILb1ELb1ELj16ENS0_21wrapped_reduce_configINS_14default_configEdEEdPdS5_dNS_4plusIdEEEEvT4_mT5_T6_T7_
; %bb.0:
	s_load_b256 s[64:71], s[0:1], 0x0
	s_mov_b32 s1, 0
	s_lshl_b32 s0, s15, 14
	v_lshlrev_b32_e32 v1, 3, v0
	s_lshl_b64 s[2:3], s[0:1], 3
	s_mov_b32 s73, s1
	v_mbcnt_lo_u32_b32 v131, -1, 0
	s_mov_b32 s72, s15
	s_waitcnt lgkmcnt(0)
	s_lshr_b64 s[4:5], s[66:67], 14
	s_add_u32 s1, s64, s2
	s_addc_u32 s2, s65, s3
	v_add_co_u32 v1, s1, s1, v1
	s_delay_alu instid0(VALU_DEP_1)
	v_add_co_ci_u32_e64 v2, null, s2, 0, s1
	s_cmp_lg_u64 s[4:5], s[72:73]
	s_cbranch_scc0 .LBB4_6
; %bb.1:
	s_clause 0x1
	global_load_b64 v[3:4], v[1:2], off
	global_load_b64 v[5:6], v[1:2], off offset:2048
	v_add_co_u32 v7, vcc_lo, v1, 0x2000
	v_add_co_ci_u32_e32 v8, vcc_lo, 0, v2, vcc_lo
	v_add_co_u32 v11, vcc_lo, 0x1000, v1
	v_add_co_ci_u32_e32 v12, vcc_lo, 0, v2, vcc_lo
	s_clause 0x2
	global_load_b64 v[9:10], v[7:8], off offset:-4096
	global_load_b64 v[11:12], v[11:12], off offset:2048
	global_load_b64 v[7:8], v[7:8], off
	v_add_co_u32 v13, vcc_lo, 0x2000, v1
	v_add_co_ci_u32_e32 v14, vcc_lo, 0, v2, vcc_lo
	v_add_co_u32 v15, vcc_lo, v1, 0x4000
	v_add_co_ci_u32_e32 v16, vcc_lo, 0, v2, vcc_lo
	global_load_b64 v[13:14], v[13:14], off offset:2048
	v_add_co_u32 v19, vcc_lo, 0x3000, v1
	global_load_b64 v[17:18], v[15:16], off offset:-4096
	v_add_co_ci_u32_e32 v20, vcc_lo, 0, v2, vcc_lo
	s_clause 0x1
	global_load_b64 v[19:20], v[19:20], off offset:2048
	global_load_b64 v[15:16], v[15:16], off
	v_add_co_u32 v21, vcc_lo, 0x4000, v1
	v_add_co_ci_u32_e32 v22, vcc_lo, 0, v2, vcc_lo
	s_mov_b32 s1, exec_lo
	global_load_b64 v[21:22], v[21:22], off offset:2048
	s_waitcnt vmcnt(8)
	v_add_f64 v[3:4], v[3:4], v[5:6]
	v_add_co_u32 v5, vcc_lo, v1, 0x6000
	v_add_co_ci_u32_e32 v6, vcc_lo, 0, v2, vcc_lo
	v_add_co_u32 v25, vcc_lo, 0x1f000, v1
	v_add_co_ci_u32_e32 v26, vcc_lo, 0, v2, vcc_lo
	s_clause 0x1
	global_load_b64 v[23:24], v[5:6], off offset:-4096
	global_load_b64 v[27:28], v[25:26], off offset:2048
	s_waitcnt vmcnt(9)
	v_add_f64 v[3:4], v[3:4], v[9:10]
	v_add_co_u32 v9, vcc_lo, 0x5000, v1
	v_add_co_ci_u32_e32 v10, vcc_lo, 0, v2, vcc_lo
	global_load_b64 v[9:10], v[9:10], off offset:2048
	s_waitcnt vmcnt(9)
	v_add_f64 v[3:4], v[3:4], v[11:12]
	s_waitcnt vmcnt(8)
	s_delay_alu instid0(VALU_DEP_1)
	v_add_f64 v[3:4], v[3:4], v[7:8]
	v_add_co_u32 v7, vcc_lo, 0x6000, v1
	v_add_co_ci_u32_e32 v8, vcc_lo, 0, v2, vcc_lo
	v_add_co_u32 v11, vcc_lo, v1, 0x8000
	v_add_co_ci_u32_e32 v12, vcc_lo, 0, v2, vcc_lo
	global_load_b64 v[7:8], v[7:8], off offset:2048
	s_waitcnt vmcnt(8)
	v_add_f64 v[3:4], v[3:4], v[13:14]
	global_load_b64 v[13:14], v[11:12], off offset:-4096
	s_waitcnt vmcnt(8)
	v_add_f64 v[3:4], v[3:4], v[17:18]
	v_add_co_u32 v17, vcc_lo, 0x7000, v1
	v_add_co_ci_u32_e32 v18, vcc_lo, 0, v2, vcc_lo
	global_load_b64 v[17:18], v[17:18], off offset:2048
	s_waitcnt vmcnt(8)
	v_add_f64 v[3:4], v[3:4], v[19:20]
	s_waitcnt vmcnt(7)
	s_delay_alu instid0(VALU_DEP_1)
	v_add_f64 v[3:4], v[3:4], v[15:16]
	v_add_co_u32 v15, vcc_lo, 0x8000, v1
	v_add_co_ci_u32_e32 v16, vcc_lo, 0, v2, vcc_lo
	v_add_co_u32 v19, vcc_lo, v1, 0xa000
	v_add_co_ci_u32_e32 v20, vcc_lo, 0, v2, vcc_lo
	s_clause 0x1
	global_load_b64 v[15:16], v[15:16], off offset:2048
	global_load_b64 v[5:6], v[5:6], off
	s_waitcnt vmcnt(8)
	v_add_f64 v[3:4], v[3:4], v[21:22]
	global_load_b64 v[21:22], v[19:20], off offset:-4096
	s_waitcnt vmcnt(8)
	v_add_f64 v[3:4], v[3:4], v[23:24]
	v_add_co_u32 v23, vcc_lo, 0x9000, v1
	v_add_co_ci_u32_e32 v24, vcc_lo, 0, v2, vcc_lo
	global_load_b64 v[23:24], v[23:24], off offset:2048
	s_waitcnt vmcnt(7)
	v_add_f64 v[3:4], v[3:4], v[9:10]
	global_load_b64 v[9:10], v[19:20], off
	s_waitcnt vmcnt(3)
	v_add_f64 v[3:4], v[3:4], v[5:6]
	v_add_co_u32 v5, vcc_lo, 0xa000, v1
	v_add_co_ci_u32_e32 v6, vcc_lo, 0, v2, vcc_lo
	global_load_b64 v[5:6], v[5:6], off offset:2048
	v_add_f64 v[3:4], v[3:4], v[7:8]
	v_add_co_u32 v7, vcc_lo, v1, 0xc000
	v_add_co_ci_u32_e32 v8, vcc_lo, 0, v2, vcc_lo
	s_clause 0x1
	global_load_b64 v[19:20], v[7:8], off offset:-4096
	global_load_b64 v[11:12], v[11:12], off
	v_add_f64 v[3:4], v[3:4], v[13:14]
	v_add_co_u32 v13, vcc_lo, 0xb000, v1
	v_add_co_ci_u32_e32 v14, vcc_lo, 0, v2, vcc_lo
	global_load_b64 v[13:14], v[13:14], off offset:2048
	v_add_f64 v[3:4], v[3:4], v[17:18]
	s_waitcnt vmcnt(1)
	s_delay_alu instid0(VALU_DEP_1)
	v_add_f64 v[3:4], v[3:4], v[11:12]
	v_add_co_u32 v11, vcc_lo, 0xc000, v1
	v_add_co_ci_u32_e32 v12, vcc_lo, 0, v2, vcc_lo
	global_load_b64 v[11:12], v[11:12], off offset:2048
	v_add_f64 v[3:4], v[3:4], v[15:16]
	v_add_co_u32 v15, vcc_lo, v1, 0xe000
	v_add_co_ci_u32_e32 v16, vcc_lo, 0, v2, vcc_lo
	global_load_b64 v[17:18], v[15:16], off offset:-4096
	v_add_f64 v[3:4], v[3:4], v[21:22]
	v_add_co_u32 v21, vcc_lo, 0xd000, v1
	v_add_co_ci_u32_e32 v22, vcc_lo, 0, v2, vcc_lo
	global_load_b64 v[21:22], v[21:22], off offset:2048
	v_add_f64 v[3:4], v[3:4], v[23:24]
	s_delay_alu instid0(VALU_DEP_1)
	v_add_f64 v[3:4], v[3:4], v[9:10]
	v_add_co_u32 v9, vcc_lo, 0xe000, v1
	v_add_co_ci_u32_e32 v10, vcc_lo, 0, v2, vcc_lo
	global_load_b64 v[9:10], v[9:10], off offset:2048
	v_add_f64 v[3:4], v[3:4], v[5:6]
	v_add_co_u32 v5, vcc_lo, v1, 0x10000
	v_add_co_ci_u32_e32 v6, vcc_lo, 0, v2, vcc_lo
	s_clause 0x1
	global_load_b64 v[23:24], v[5:6], off offset:-4096
	global_load_b64 v[7:8], v[7:8], off
	v_add_f64 v[3:4], v[3:4], v[19:20]
	v_add_co_u32 v19, vcc_lo, 0xf000, v1
	v_add_co_ci_u32_e32 v20, vcc_lo, 0, v2, vcc_lo
	s_clause 0x1
	global_load_b64 v[19:20], v[19:20], off offset:2048
	global_load_b64 v[5:6], v[5:6], off
	s_waitcnt vmcnt(8)
	v_add_f64 v[3:4], v[3:4], v[13:14]
	s_waitcnt vmcnt(2)
	s_delay_alu instid0(VALU_DEP_1)
	v_add_f64 v[3:4], v[3:4], v[7:8]
	v_add_co_u32 v7, vcc_lo, 0x10000, v1
	v_add_co_ci_u32_e32 v8, vcc_lo, 0, v2, vcc_lo
	global_load_b64 v[7:8], v[7:8], off offset:2048
	v_add_f64 v[3:4], v[3:4], v[11:12]
	v_add_co_u32 v11, vcc_lo, v1, 0x12000
	v_add_co_ci_u32_e32 v12, vcc_lo, 0, v2, vcc_lo
	s_clause 0x2
	global_load_b64 v[13:14], v[11:12], off offset:-4096
	global_load_b64 v[15:16], v[15:16], off
	global_load_b64 v[11:12], v[11:12], off
	v_add_f64 v[3:4], v[3:4], v[17:18]
	v_add_co_u32 v17, vcc_lo, 0x11000, v1
	v_add_co_ci_u32_e32 v18, vcc_lo, 0, v2, vcc_lo
	global_load_b64 v[17:18], v[17:18], off offset:2048
	v_add_f64 v[3:4], v[3:4], v[21:22]
	s_waitcnt vmcnt(2)
	s_delay_alu instid0(VALU_DEP_1)
	v_add_f64 v[3:4], v[3:4], v[15:16]
	v_add_co_u32 v15, vcc_lo, 0x12000, v1
	v_add_co_ci_u32_e32 v16, vcc_lo, 0, v2, vcc_lo
	global_load_b64 v[15:16], v[15:16], off offset:2048
	v_add_f64 v[3:4], v[3:4], v[9:10]
	v_add_co_u32 v9, vcc_lo, v1, 0x14000
	v_add_co_ci_u32_e32 v10, vcc_lo, 0, v2, vcc_lo
	global_load_b64 v[21:22], v[9:10], off offset:-4096
	v_add_f64 v[3:4], v[3:4], v[23:24]
	v_add_co_u32 v23, vcc_lo, 0x13000, v1
	v_add_co_ci_u32_e32 v24, vcc_lo, 0, v2, vcc_lo
	global_load_b64 v[23:24], v[23:24], off offset:2048
	v_add_f64 v[3:4], v[3:4], v[19:20]
	s_delay_alu instid0(VALU_DEP_1)
	v_add_f64 v[3:4], v[3:4], v[5:6]
	v_add_co_u32 v5, vcc_lo, 0x14000, v1
	v_add_co_ci_u32_e32 v6, vcc_lo, 0, v2, vcc_lo
	global_load_b64 v[5:6], v[5:6], off offset:2048
	v_add_f64 v[3:4], v[3:4], v[7:8]
	v_add_co_u32 v7, vcc_lo, v1, 0x16000
	v_add_co_ci_u32_e32 v8, vcc_lo, 0, v2, vcc_lo
	s_clause 0x1
	global_load_b64 v[19:20], v[7:8], off offset:-4096
	global_load_b64 v[9:10], v[9:10], off
	v_add_f64 v[3:4], v[3:4], v[13:14]
	v_add_co_u32 v13, vcc_lo, 0x15000, v1
	v_add_co_ci_u32_e32 v14, vcc_lo, 0, v2, vcc_lo
	global_load_b64 v[13:14], v[13:14], off offset:2048
	s_waitcnt vmcnt(7)
	v_add_f64 v[3:4], v[3:4], v[17:18]
	s_delay_alu instid0(VALU_DEP_1)
	v_add_f64 v[3:4], v[3:4], v[11:12]
	v_add_co_u32 v11, vcc_lo, 0x16000, v1
	v_add_co_ci_u32_e32 v12, vcc_lo, 0, v2, vcc_lo
	global_load_b64 v[11:12], v[11:12], off offset:2048
	s_waitcnt vmcnt(7)
	v_add_f64 v[3:4], v[3:4], v[15:16]
	v_add_co_u32 v15, vcc_lo, v1, 0x18000
	v_add_co_ci_u32_e32 v16, vcc_lo, 0, v2, vcc_lo
	global_load_b64 v[17:18], v[15:16], off offset:-4096
	s_waitcnt vmcnt(7)
	v_add_f64 v[3:4], v[3:4], v[21:22]
	v_add_co_u32 v21, vcc_lo, 0x17000, v1
	v_add_co_ci_u32_e32 v22, vcc_lo, 0, v2, vcc_lo
	s_clause 0x1
	global_load_b64 v[21:22], v[21:22], off offset:2048
	global_load_b64 v[15:16], v[15:16], off
	s_waitcnt vmcnt(8)
	v_add_f64 v[3:4], v[3:4], v[23:24]
	s_waitcnt vmcnt(5)
	s_delay_alu instid0(VALU_DEP_1)
	v_add_f64 v[3:4], v[3:4], v[9:10]
	v_add_co_u32 v9, vcc_lo, 0x18000, v1
	v_add_co_ci_u32_e32 v10, vcc_lo, 0, v2, vcc_lo
	global_load_b64 v[9:10], v[9:10], off offset:2048
	v_add_f64 v[3:4], v[3:4], v[5:6]
	v_add_co_u32 v5, vcc_lo, v1, 0x1a000
	v_add_co_ci_u32_e32 v6, vcc_lo, 0, v2, vcc_lo
	s_clause 0x2
	global_load_b64 v[23:24], v[5:6], off offset:-4096
	global_load_b64 v[7:8], v[7:8], off
	global_load_b64 v[5:6], v[5:6], off
	v_add_f64 v[3:4], v[3:4], v[19:20]
	v_add_co_u32 v19, vcc_lo, 0x19000, v1
	v_add_co_ci_u32_e32 v20, vcc_lo, 0, v2, vcc_lo
	global_load_b64 v[19:20], v[19:20], off offset:2048
	s_waitcnt vmcnt(9)
	v_add_f64 v[3:4], v[3:4], v[13:14]
	s_waitcnt vmcnt(2)
	s_delay_alu instid0(VALU_DEP_1)
	v_add_f64 v[3:4], v[3:4], v[7:8]
	v_add_co_u32 v7, vcc_lo, 0x1a000, v1
	v_add_co_ci_u32_e32 v8, vcc_lo, 0, v2, vcc_lo
	global_load_b64 v[7:8], v[7:8], off offset:2048
	v_add_f64 v[3:4], v[3:4], v[11:12]
	v_add_co_u32 v11, vcc_lo, v1, 0x1c000
	v_add_co_ci_u32_e32 v12, vcc_lo, 0, v2, vcc_lo
	global_load_b64 v[13:14], v[11:12], off offset:-4096
	v_add_f64 v[3:4], v[3:4], v[17:18]
	v_add_co_u32 v17, vcc_lo, 0x1b000, v1
	v_add_co_ci_u32_e32 v18, vcc_lo, 0, v2, vcc_lo
	global_load_b64 v[17:18], v[17:18], off offset:2048
	v_add_f64 v[3:4], v[3:4], v[21:22]
	s_delay_alu instid0(VALU_DEP_1)
	v_add_f64 v[3:4], v[3:4], v[15:16]
	v_add_co_u32 v15, vcc_lo, 0x1c000, v1
	v_add_co_ci_u32_e32 v16, vcc_lo, 0, v2, vcc_lo
	global_load_b64 v[15:16], v[15:16], off offset:2048
	v_add_f64 v[3:4], v[3:4], v[9:10]
	v_add_co_u32 v9, vcc_lo, v1, 0x1e000
	v_add_co_ci_u32_e32 v10, vcc_lo, 0, v2, vcc_lo
	s_clause 0x2
	global_load_b64 v[21:22], v[9:10], off offset:-4096
	global_load_b64 v[11:12], v[11:12], off
	global_load_b64 v[9:10], v[9:10], off
	v_add_f64 v[3:4], v[3:4], v[23:24]
	v_add_co_u32 v23, vcc_lo, 0x1d000, v1
	v_add_co_ci_u32_e32 v24, vcc_lo, 0, v2, vcc_lo
	global_load_b64 v[23:24], v[23:24], off offset:2048
	s_waitcnt vmcnt(8)
	v_add_f64 v[3:4], v[3:4], v[19:20]
	s_delay_alu instid0(VALU_DEP_1)
	v_add_f64 v[3:4], v[3:4], v[5:6]
	v_add_co_u32 v5, vcc_lo, 0x1e000, v1
	v_add_co_ci_u32_e32 v6, vcc_lo, 0, v2, vcc_lo
	global_load_b64 v[5:6], v[5:6], off offset:2048
	s_waitcnt vmcnt(8)
	v_add_f64 v[3:4], v[3:4], v[7:8]
	global_load_b64 v[7:8], v[25:26], off
	s_waitcnt vmcnt(8)
	v_add_f64 v[3:4], v[3:4], v[13:14]
	s_waitcnt vmcnt(7)
	s_delay_alu instid0(VALU_DEP_1) | instskip(SKIP_1) | instid1(VALU_DEP_1)
	v_add_f64 v[3:4], v[3:4], v[17:18]
	s_waitcnt vmcnt(4)
	v_add_f64 v[3:4], v[3:4], v[11:12]
	s_delay_alu instid0(VALU_DEP_1) | instskip(NEXT) | instid1(VALU_DEP_1)
	v_add_f64 v[3:4], v[3:4], v[15:16]
	v_add_f64 v[3:4], v[3:4], v[21:22]
	s_waitcnt vmcnt(2)
	s_delay_alu instid0(VALU_DEP_1) | instskip(NEXT) | instid1(VALU_DEP_1)
	v_add_f64 v[3:4], v[3:4], v[23:24]
	v_add_f64 v[3:4], v[3:4], v[9:10]
	s_waitcnt vmcnt(1)
	s_delay_alu instid0(VALU_DEP_1) | instskip(SKIP_1) | instid1(VALU_DEP_1)
	v_add_f64 v[3:4], v[3:4], v[5:6]
	s_waitcnt vmcnt(0)
	v_add_f64 v[3:4], v[3:4], v[7:8]
	s_delay_alu instid0(VALU_DEP_1) | instskip(NEXT) | instid1(VALU_DEP_1)
	v_add_f64 v[3:4], v[3:4], v[27:28]
	v_mov_b32_dpp v5, v3 quad_perm:[1,0,3,2] row_mask:0xf bank_mask:0xf
	s_delay_alu instid0(VALU_DEP_2) | instskip(NEXT) | instid1(VALU_DEP_1)
	v_mov_b32_dpp v6, v4 quad_perm:[1,0,3,2] row_mask:0xf bank_mask:0xf
	v_add_f64 v[3:4], v[3:4], v[5:6]
	s_delay_alu instid0(VALU_DEP_1) | instskip(NEXT) | instid1(VALU_DEP_2)
	v_mov_b32_dpp v5, v3 quad_perm:[2,3,0,1] row_mask:0xf bank_mask:0xf
	v_mov_b32_dpp v6, v4 quad_perm:[2,3,0,1] row_mask:0xf bank_mask:0xf
	s_delay_alu instid0(VALU_DEP_1) | instskip(NEXT) | instid1(VALU_DEP_1)
	v_add_f64 v[3:4], v[3:4], v[5:6]
	v_mov_b32_dpp v5, v3 row_ror:4 row_mask:0xf bank_mask:0xf
	s_delay_alu instid0(VALU_DEP_2) | instskip(NEXT) | instid1(VALU_DEP_1)
	v_mov_b32_dpp v6, v4 row_ror:4 row_mask:0xf bank_mask:0xf
	v_add_f64 v[3:4], v[3:4], v[5:6]
	s_delay_alu instid0(VALU_DEP_1) | instskip(NEXT) | instid1(VALU_DEP_2)
	v_mov_b32_dpp v5, v3 row_ror:8 row_mask:0xf bank_mask:0xf
	v_mov_b32_dpp v6, v4 row_ror:8 row_mask:0xf bank_mask:0xf
	s_delay_alu instid0(VALU_DEP_1)
	v_add_f64 v[3:4], v[3:4], v[5:6]
	ds_swizzle_b32 v5, v3 offset:swizzle(BROADCAST,32,15)
	ds_swizzle_b32 v6, v4 offset:swizzle(BROADCAST,32,15)
	s_waitcnt lgkmcnt(0)
	v_add_f64 v[3:4], v[3:4], v[5:6]
	v_mov_b32_e32 v5, 0
	ds_bpermute_b32 v3, v5, v3 offset:124
	ds_bpermute_b32 v4, v5, v4 offset:124
	v_cmpx_eq_u32_e32 0, v131
	s_cbranch_execz .LBB4_3
; %bb.2:
	v_lshrrev_b32_e32 v5, 2, v0
	s_delay_alu instid0(VALU_DEP_1)
	v_and_b32_e32 v5, 56, v5
	s_waitcnt lgkmcnt(0)
	ds_store_b64 v5, v[3:4]
.LBB4_3:
	s_or_b32 exec_lo, exec_lo, s1
	s_delay_alu instid0(SALU_CYCLE_1)
	s_mov_b32 s1, exec_lo
	s_waitcnt lgkmcnt(0)
	s_barrier
	buffer_gl0_inv
	v_cmpx_gt_u32_e32 32, v0
	s_cbranch_execz .LBB4_5
; %bb.4:
	v_and_b32_e32 v7, 7, v131
	s_delay_alu instid0(VALU_DEP_1) | instskip(SKIP_4) | instid1(VALU_DEP_2)
	v_lshlrev_b32_e32 v3, 3, v7
	v_cmp_ne_u32_e32 vcc_lo, 7, v7
	ds_load_b64 v[3:4], v3
	v_add_co_ci_u32_e32 v5, vcc_lo, 0, v131, vcc_lo
	v_cmp_gt_u32_e32 vcc_lo, 6, v7
	v_lshlrev_b32_e32 v6, 2, v5
	s_waitcnt lgkmcnt(0)
	ds_bpermute_b32 v5, v6, v3
	ds_bpermute_b32 v6, v6, v4
	s_waitcnt lgkmcnt(0)
	v_add_f64 v[3:4], v[3:4], v[5:6]
	v_cndmask_b32_e64 v5, 0, 1, vcc_lo
	v_cmp_gt_u32_e32 vcc_lo, 4, v7
	s_delay_alu instid0(VALU_DEP_2) | instskip(NEXT) | instid1(VALU_DEP_1)
	v_lshlrev_b32_e32 v5, 1, v5
	v_add_lshl_u32 v6, v5, v131, 2
	ds_bpermute_b32 v5, v6, v3
	ds_bpermute_b32 v6, v6, v4
	s_waitcnt lgkmcnt(0)
	v_add_f64 v[3:4], v[3:4], v[5:6]
	v_cndmask_b32_e64 v5, 0, 1, vcc_lo
	s_delay_alu instid0(VALU_DEP_1) | instskip(NEXT) | instid1(VALU_DEP_1)
	v_lshlrev_b32_e32 v5, 2, v5
	v_add_lshl_u32 v6, v5, v131, 2
	ds_bpermute_b32 v5, v6, v3
	ds_bpermute_b32 v6, v6, v4
	s_waitcnt lgkmcnt(0)
	v_add_f64 v[3:4], v[3:4], v[5:6]
.LBB4_5:
	s_or_b32 exec_lo, exec_lo, s1
	s_branch .LBB4_156
.LBB4_6:
                                        ; implicit-def: $vgpr3_vgpr4
	s_cbranch_execz .LBB4_156
; %bb.7:
	s_sub_i32 s64, s66, s0
	s_mov_b32 s0, exec_lo
                                        ; implicit-def: $vgpr3_vgpr4
	v_cmpx_gt_u32_e64 s64, v0
	s_cbranch_execz .LBB4_9
; %bb.8:
	global_load_b64 v[3:4], v[1:2], off
.LBB4_9:
	s_or_b32 exec_lo, exec_lo, s0
	v_or_b32_e32 v5, 0x100, v0
	s_delay_alu instid0(VALU_DEP_1)
	v_cmp_gt_u32_e32 vcc_lo, s64, v5
                                        ; implicit-def: $vgpr5_vgpr6
	s_and_saveexec_b32 s0, vcc_lo
	s_cbranch_execz .LBB4_11
; %bb.10:
	global_load_b64 v[5:6], v[1:2], off offset:2048
.LBB4_11:
	s_or_b32 exec_lo, exec_lo, s0
	v_or_b32_e32 v7, 0x200, v0
	s_delay_alu instid0(VALU_DEP_1) | instskip(NEXT) | instid1(VALU_DEP_1)
	v_cmp_gt_u32_e64 s0, s64, v7
                                        ; implicit-def: $vgpr7_vgpr8
	s_and_saveexec_b32 s2, s0
	s_cbranch_execz .LBB4_13
; %bb.12:
	v_add_co_u32 v7, s1, 0x1000, v1
	s_delay_alu instid0(VALU_DEP_1)
	v_add_co_ci_u32_e64 v8, s1, 0, v2, s1
	global_load_b64 v[7:8], v[7:8], off
.LBB4_13:
	s_or_b32 exec_lo, exec_lo, s2
	v_or_b32_e32 v9, 0x300, v0
	s_delay_alu instid0(VALU_DEP_1) | instskip(NEXT) | instid1(VALU_DEP_1)
	v_cmp_gt_u32_e64 s1, s64, v9
                                        ; implicit-def: $vgpr9_vgpr10
	s_and_saveexec_b32 s3, s1
	s_cbranch_execz .LBB4_15
; %bb.14:
	v_add_co_u32 v9, s2, 0x1000, v1
	s_delay_alu instid0(VALU_DEP_1)
	v_add_co_ci_u32_e64 v10, s2, 0, v2, s2
	global_load_b64 v[9:10], v[9:10], off offset:2048
.LBB4_15:
	s_or_b32 exec_lo, exec_lo, s3
	v_or_b32_e32 v11, 0x400, v0
	s_delay_alu instid0(VALU_DEP_1) | instskip(NEXT) | instid1(VALU_DEP_1)
	v_cmp_gt_u32_e64 s2, s64, v11
                                        ; implicit-def: $vgpr11_vgpr12
	s_and_saveexec_b32 s4, s2
	s_cbranch_execz .LBB4_17
; %bb.16:
	v_add_co_u32 v11, s3, 0x2000, v1
	s_delay_alu instid0(VALU_DEP_1)
	v_add_co_ci_u32_e64 v12, s3, 0, v2, s3
	global_load_b64 v[11:12], v[11:12], off
.LBB4_17:
	s_or_b32 exec_lo, exec_lo, s4
	v_or_b32_e32 v13, 0x500, v0
	s_delay_alu instid0(VALU_DEP_1) | instskip(NEXT) | instid1(VALU_DEP_1)
	v_cmp_gt_u32_e64 s3, s64, v13
                                        ; implicit-def: $vgpr13_vgpr14
	s_and_saveexec_b32 s5, s3
	s_cbranch_execz .LBB4_19
; %bb.18:
	v_add_co_u32 v13, s4, 0x2000, v1
	s_delay_alu instid0(VALU_DEP_1)
	v_add_co_ci_u32_e64 v14, s4, 0, v2, s4
	global_load_b64 v[13:14], v[13:14], off offset:2048
.LBB4_19:
	s_or_b32 exec_lo, exec_lo, s5
	v_or_b32_e32 v15, 0x600, v0
	s_delay_alu instid0(VALU_DEP_1) | instskip(NEXT) | instid1(VALU_DEP_1)
	v_cmp_gt_u32_e64 s4, s64, v15
                                        ; implicit-def: $vgpr15_vgpr16
	s_and_saveexec_b32 s6, s4
	s_cbranch_execz .LBB4_21
; %bb.20:
	v_add_co_u32 v15, s5, 0x3000, v1
	s_delay_alu instid0(VALU_DEP_1)
	v_add_co_ci_u32_e64 v16, s5, 0, v2, s5
	global_load_b64 v[15:16], v[15:16], off
.LBB4_21:
	s_or_b32 exec_lo, exec_lo, s6
	v_or_b32_e32 v17, 0x700, v0
	s_delay_alu instid0(VALU_DEP_1) | instskip(NEXT) | instid1(VALU_DEP_1)
	v_cmp_gt_u32_e64 s5, s64, v17
                                        ; implicit-def: $vgpr17_vgpr18
	s_and_saveexec_b32 s7, s5
	s_cbranch_execz .LBB4_23
; %bb.22:
	v_add_co_u32 v17, s6, 0x3000, v1
	s_delay_alu instid0(VALU_DEP_1)
	v_add_co_ci_u32_e64 v18, s6, 0, v2, s6
	global_load_b64 v[17:18], v[17:18], off offset:2048
.LBB4_23:
	s_or_b32 exec_lo, exec_lo, s7
	v_or_b32_e32 v19, 0x800, v0
	s_delay_alu instid0(VALU_DEP_1) | instskip(NEXT) | instid1(VALU_DEP_1)
	v_cmp_gt_u32_e64 s6, s64, v19
                                        ; implicit-def: $vgpr19_vgpr20
	s_and_saveexec_b32 s8, s6
	s_cbranch_execz .LBB4_25
; %bb.24:
	v_add_co_u32 v19, s7, 0x4000, v1
	s_delay_alu instid0(VALU_DEP_1)
	v_add_co_ci_u32_e64 v20, s7, 0, v2, s7
	global_load_b64 v[19:20], v[19:20], off
.LBB4_25:
	s_or_b32 exec_lo, exec_lo, s8
	v_or_b32_e32 v21, 0x900, v0
	s_delay_alu instid0(VALU_DEP_1) | instskip(NEXT) | instid1(VALU_DEP_1)
	v_cmp_gt_u32_e64 s7, s64, v21
                                        ; implicit-def: $vgpr21_vgpr22
	s_and_saveexec_b32 s9, s7
	s_cbranch_execz .LBB4_27
; %bb.26:
	v_add_co_u32 v21, s8, 0x4000, v1
	s_delay_alu instid0(VALU_DEP_1)
	v_add_co_ci_u32_e64 v22, s8, 0, v2, s8
	global_load_b64 v[21:22], v[21:22], off offset:2048
.LBB4_27:
	s_or_b32 exec_lo, exec_lo, s9
	v_or_b32_e32 v23, 0xa00, v0
	s_delay_alu instid0(VALU_DEP_1) | instskip(NEXT) | instid1(VALU_DEP_1)
	v_cmp_gt_u32_e64 s8, s64, v23
                                        ; implicit-def: $vgpr23_vgpr24
	s_and_saveexec_b32 s10, s8
	s_cbranch_execz .LBB4_29
; %bb.28:
	v_add_co_u32 v23, s9, 0x5000, v1
	s_delay_alu instid0(VALU_DEP_1)
	v_add_co_ci_u32_e64 v24, s9, 0, v2, s9
	global_load_b64 v[23:24], v[23:24], off
.LBB4_29:
	s_or_b32 exec_lo, exec_lo, s10
	v_or_b32_e32 v25, 0xb00, v0
	s_delay_alu instid0(VALU_DEP_1) | instskip(NEXT) | instid1(VALU_DEP_1)
	v_cmp_gt_u32_e64 s9, s64, v25
                                        ; implicit-def: $vgpr25_vgpr26
	s_and_saveexec_b32 s11, s9
	s_cbranch_execz .LBB4_31
; %bb.30:
	v_add_co_u32 v25, s10, 0x5000, v1
	s_delay_alu instid0(VALU_DEP_1)
	v_add_co_ci_u32_e64 v26, s10, 0, v2, s10
	global_load_b64 v[25:26], v[25:26], off offset:2048
.LBB4_31:
	s_or_b32 exec_lo, exec_lo, s11
	v_or_b32_e32 v27, 0xc00, v0
	s_delay_alu instid0(VALU_DEP_1) | instskip(NEXT) | instid1(VALU_DEP_1)
	v_cmp_gt_u32_e64 s10, s64, v27
                                        ; implicit-def: $vgpr27_vgpr28
	s_and_saveexec_b32 s12, s10
	s_cbranch_execz .LBB4_33
; %bb.32:
	v_add_co_u32 v27, s11, 0x6000, v1
	s_delay_alu instid0(VALU_DEP_1)
	v_add_co_ci_u32_e64 v28, s11, 0, v2, s11
	global_load_b64 v[27:28], v[27:28], off
.LBB4_33:
	s_or_b32 exec_lo, exec_lo, s12
	v_or_b32_e32 v29, 0xd00, v0
	s_delay_alu instid0(VALU_DEP_1) | instskip(NEXT) | instid1(VALU_DEP_1)
	v_cmp_gt_u32_e64 s11, s64, v29
                                        ; implicit-def: $vgpr29_vgpr30
	s_and_saveexec_b32 s13, s11
	s_cbranch_execz .LBB4_35
; %bb.34:
	v_add_co_u32 v29, s12, 0x6000, v1
	s_delay_alu instid0(VALU_DEP_1)
	v_add_co_ci_u32_e64 v30, s12, 0, v2, s12
	global_load_b64 v[29:30], v[29:30], off offset:2048
.LBB4_35:
	s_or_b32 exec_lo, exec_lo, s13
	v_or_b32_e32 v31, 0xe00, v0
	s_delay_alu instid0(VALU_DEP_1) | instskip(NEXT) | instid1(VALU_DEP_1)
	v_cmp_gt_u32_e64 s12, s64, v31
                                        ; implicit-def: $vgpr31_vgpr32
	s_and_saveexec_b32 s14, s12
	s_cbranch_execz .LBB4_37
; %bb.36:
	v_add_co_u32 v31, s13, 0x7000, v1
	s_delay_alu instid0(VALU_DEP_1)
	v_add_co_ci_u32_e64 v32, s13, 0, v2, s13
	global_load_b64 v[31:32], v[31:32], off
.LBB4_37:
	s_or_b32 exec_lo, exec_lo, s14
	v_or_b32_e32 v33, 0xf00, v0
	s_delay_alu instid0(VALU_DEP_1) | instskip(NEXT) | instid1(VALU_DEP_1)
	v_cmp_gt_u32_e64 s13, s64, v33
                                        ; implicit-def: $vgpr33_vgpr34
	s_and_saveexec_b32 s15, s13
	s_cbranch_execz .LBB4_39
; %bb.38:
	v_add_co_u32 v33, s14, 0x7000, v1
	s_delay_alu instid0(VALU_DEP_1)
	v_add_co_ci_u32_e64 v34, s14, 0, v2, s14
	global_load_b64 v[33:34], v[33:34], off offset:2048
.LBB4_39:
	s_or_b32 exec_lo, exec_lo, s15
	v_or_b32_e32 v35, 0x1000, v0
	s_delay_alu instid0(VALU_DEP_1) | instskip(NEXT) | instid1(VALU_DEP_1)
	v_cmp_gt_u32_e64 s14, s64, v35
                                        ; implicit-def: $vgpr35_vgpr36
	s_and_saveexec_b32 s16, s14
	s_cbranch_execz .LBB4_41
; %bb.40:
	v_add_co_u32 v35, s15, 0x8000, v1
	s_delay_alu instid0(VALU_DEP_1)
	v_add_co_ci_u32_e64 v36, s15, 0, v2, s15
	global_load_b64 v[35:36], v[35:36], off
.LBB4_41:
	s_or_b32 exec_lo, exec_lo, s16
	v_or_b32_e32 v37, 0x1100, v0
	s_delay_alu instid0(VALU_DEP_1) | instskip(NEXT) | instid1(VALU_DEP_1)
	v_cmp_gt_u32_e64 s15, s64, v37
                                        ; implicit-def: $vgpr37_vgpr38
	s_and_saveexec_b32 s17, s15
	s_cbranch_execz .LBB4_43
; %bb.42:
	v_add_co_u32 v37, s16, 0x8000, v1
	s_delay_alu instid0(VALU_DEP_1)
	v_add_co_ci_u32_e64 v38, s16, 0, v2, s16
	global_load_b64 v[37:38], v[37:38], off offset:2048
.LBB4_43:
	s_or_b32 exec_lo, exec_lo, s17
	v_or_b32_e32 v39, 0x1200, v0
	s_delay_alu instid0(VALU_DEP_1) | instskip(NEXT) | instid1(VALU_DEP_1)
	v_cmp_gt_u32_e64 s16, s64, v39
                                        ; implicit-def: $vgpr39_vgpr40
	s_and_saveexec_b32 s18, s16
	s_cbranch_execz .LBB4_45
; %bb.44:
	v_add_co_u32 v39, s17, 0x9000, v1
	s_delay_alu instid0(VALU_DEP_1)
	v_add_co_ci_u32_e64 v40, s17, 0, v2, s17
	global_load_b64 v[39:40], v[39:40], off
.LBB4_45:
	s_or_b32 exec_lo, exec_lo, s18
	v_or_b32_e32 v41, 0x1300, v0
	s_delay_alu instid0(VALU_DEP_1) | instskip(NEXT) | instid1(VALU_DEP_1)
	v_cmp_gt_u32_e64 s17, s64, v41
                                        ; implicit-def: $vgpr41_vgpr42
	s_and_saveexec_b32 s19, s17
	s_cbranch_execz .LBB4_47
; %bb.46:
	v_add_co_u32 v41, s18, 0x9000, v1
	s_delay_alu instid0(VALU_DEP_1)
	v_add_co_ci_u32_e64 v42, s18, 0, v2, s18
	global_load_b64 v[41:42], v[41:42], off offset:2048
.LBB4_47:
	s_or_b32 exec_lo, exec_lo, s19
	v_or_b32_e32 v43, 0x1400, v0
	s_delay_alu instid0(VALU_DEP_1) | instskip(NEXT) | instid1(VALU_DEP_1)
	v_cmp_gt_u32_e64 s18, s64, v43
                                        ; implicit-def: $vgpr43_vgpr44
	s_and_saveexec_b32 s20, s18
	s_cbranch_execz .LBB4_49
; %bb.48:
	v_add_co_u32 v43, s19, 0xa000, v1
	s_delay_alu instid0(VALU_DEP_1)
	v_add_co_ci_u32_e64 v44, s19, 0, v2, s19
	global_load_b64 v[43:44], v[43:44], off
.LBB4_49:
	s_or_b32 exec_lo, exec_lo, s20
	v_or_b32_e32 v45, 0x1500, v0
	s_delay_alu instid0(VALU_DEP_1) | instskip(NEXT) | instid1(VALU_DEP_1)
	v_cmp_gt_u32_e64 s19, s64, v45
                                        ; implicit-def: $vgpr45_vgpr46
	s_and_saveexec_b32 s21, s19
	s_cbranch_execz .LBB4_51
; %bb.50:
	v_add_co_u32 v45, s20, 0xa000, v1
	s_delay_alu instid0(VALU_DEP_1)
	v_add_co_ci_u32_e64 v46, s20, 0, v2, s20
	global_load_b64 v[45:46], v[45:46], off offset:2048
.LBB4_51:
	s_or_b32 exec_lo, exec_lo, s21
	v_or_b32_e32 v47, 0x1600, v0
	s_delay_alu instid0(VALU_DEP_1) | instskip(NEXT) | instid1(VALU_DEP_1)
	v_cmp_gt_u32_e64 s20, s64, v47
                                        ; implicit-def: $vgpr47_vgpr48
	s_and_saveexec_b32 s22, s20
	s_cbranch_execz .LBB4_53
; %bb.52:
	v_add_co_u32 v47, s21, 0xb000, v1
	s_delay_alu instid0(VALU_DEP_1)
	v_add_co_ci_u32_e64 v48, s21, 0, v2, s21
	global_load_b64 v[47:48], v[47:48], off
.LBB4_53:
	s_or_b32 exec_lo, exec_lo, s22
	v_or_b32_e32 v49, 0x1700, v0
	s_delay_alu instid0(VALU_DEP_1) | instskip(NEXT) | instid1(VALU_DEP_1)
	v_cmp_gt_u32_e64 s21, s64, v49
                                        ; implicit-def: $vgpr49_vgpr50
	s_and_saveexec_b32 s23, s21
	s_cbranch_execz .LBB4_55
; %bb.54:
	v_add_co_u32 v49, s22, 0xb000, v1
	s_delay_alu instid0(VALU_DEP_1)
	v_add_co_ci_u32_e64 v50, s22, 0, v2, s22
	global_load_b64 v[49:50], v[49:50], off offset:2048
.LBB4_55:
	s_or_b32 exec_lo, exec_lo, s23
	v_or_b32_e32 v51, 0x1800, v0
	s_delay_alu instid0(VALU_DEP_1) | instskip(NEXT) | instid1(VALU_DEP_1)
	v_cmp_gt_u32_e64 s22, s64, v51
                                        ; implicit-def: $vgpr51_vgpr52
	s_and_saveexec_b32 s24, s22
	s_cbranch_execz .LBB4_57
; %bb.56:
	v_add_co_u32 v51, s23, 0xc000, v1
	s_delay_alu instid0(VALU_DEP_1)
	v_add_co_ci_u32_e64 v52, s23, 0, v2, s23
	global_load_b64 v[51:52], v[51:52], off
.LBB4_57:
	s_or_b32 exec_lo, exec_lo, s24
	v_or_b32_e32 v53, 0x1900, v0
	s_delay_alu instid0(VALU_DEP_1) | instskip(NEXT) | instid1(VALU_DEP_1)
	v_cmp_gt_u32_e64 s23, s64, v53
                                        ; implicit-def: $vgpr53_vgpr54
	s_and_saveexec_b32 s25, s23
	s_cbranch_execz .LBB4_59
; %bb.58:
	v_add_co_u32 v53, s24, 0xc000, v1
	s_delay_alu instid0(VALU_DEP_1)
	v_add_co_ci_u32_e64 v54, s24, 0, v2, s24
	global_load_b64 v[53:54], v[53:54], off offset:2048
.LBB4_59:
	s_or_b32 exec_lo, exec_lo, s25
	v_or_b32_e32 v55, 0x1a00, v0
	s_delay_alu instid0(VALU_DEP_1) | instskip(NEXT) | instid1(VALU_DEP_1)
	v_cmp_gt_u32_e64 s24, s64, v55
                                        ; implicit-def: $vgpr55_vgpr56
	s_and_saveexec_b32 s26, s24
	s_cbranch_execz .LBB4_61
; %bb.60:
	v_add_co_u32 v55, s25, 0xd000, v1
	s_delay_alu instid0(VALU_DEP_1)
	v_add_co_ci_u32_e64 v56, s25, 0, v2, s25
	global_load_b64 v[55:56], v[55:56], off
.LBB4_61:
	s_or_b32 exec_lo, exec_lo, s26
	v_or_b32_e32 v57, 0x1b00, v0
	s_delay_alu instid0(VALU_DEP_1) | instskip(NEXT) | instid1(VALU_DEP_1)
	v_cmp_gt_u32_e64 s25, s64, v57
                                        ; implicit-def: $vgpr57_vgpr58
	s_and_saveexec_b32 s27, s25
	s_cbranch_execz .LBB4_63
; %bb.62:
	v_add_co_u32 v57, s26, 0xd000, v1
	s_delay_alu instid0(VALU_DEP_1)
	v_add_co_ci_u32_e64 v58, s26, 0, v2, s26
	global_load_b64 v[57:58], v[57:58], off offset:2048
.LBB4_63:
	s_or_b32 exec_lo, exec_lo, s27
	v_or_b32_e32 v59, 0x1c00, v0
	s_delay_alu instid0(VALU_DEP_1) | instskip(NEXT) | instid1(VALU_DEP_1)
	v_cmp_gt_u32_e64 s26, s64, v59
                                        ; implicit-def: $vgpr59_vgpr60
	s_and_saveexec_b32 s28, s26
	s_cbranch_execz .LBB4_65
; %bb.64:
	v_add_co_u32 v59, s27, 0xe000, v1
	s_delay_alu instid0(VALU_DEP_1)
	v_add_co_ci_u32_e64 v60, s27, 0, v2, s27
	global_load_b64 v[59:60], v[59:60], off
.LBB4_65:
	s_or_b32 exec_lo, exec_lo, s28
	v_or_b32_e32 v61, 0x1d00, v0
	s_delay_alu instid0(VALU_DEP_1) | instskip(NEXT) | instid1(VALU_DEP_1)
	v_cmp_gt_u32_e64 s27, s64, v61
                                        ; implicit-def: $vgpr61_vgpr62
	s_and_saveexec_b32 s29, s27
	s_cbranch_execz .LBB4_67
; %bb.66:
	v_add_co_u32 v61, s28, 0xe000, v1
	s_delay_alu instid0(VALU_DEP_1)
	v_add_co_ci_u32_e64 v62, s28, 0, v2, s28
	global_load_b64 v[61:62], v[61:62], off offset:2048
.LBB4_67:
	s_or_b32 exec_lo, exec_lo, s29
	v_or_b32_e32 v63, 0x1e00, v0
	s_delay_alu instid0(VALU_DEP_1) | instskip(NEXT) | instid1(VALU_DEP_1)
	v_cmp_gt_u32_e64 s28, s64, v63
                                        ; implicit-def: $vgpr63_vgpr64
	s_and_saveexec_b32 s30, s28
	s_cbranch_execz .LBB4_69
; %bb.68:
	v_add_co_u32 v63, s29, 0xf000, v1
	s_delay_alu instid0(VALU_DEP_1)
	v_add_co_ci_u32_e64 v64, s29, 0, v2, s29
	global_load_b64 v[63:64], v[63:64], off
.LBB4_69:
	s_or_b32 exec_lo, exec_lo, s30
	v_or_b32_e32 v65, 0x1f00, v0
	s_delay_alu instid0(VALU_DEP_1) | instskip(NEXT) | instid1(VALU_DEP_1)
	v_cmp_gt_u32_e64 s29, s64, v65
                                        ; implicit-def: $vgpr65_vgpr66
	s_and_saveexec_b32 s31, s29
	s_cbranch_execz .LBB4_71
; %bb.70:
	v_add_co_u32 v65, s30, 0xf000, v1
	s_delay_alu instid0(VALU_DEP_1)
	v_add_co_ci_u32_e64 v66, s30, 0, v2, s30
	global_load_b64 v[65:66], v[65:66], off offset:2048
.LBB4_71:
	s_or_b32 exec_lo, exec_lo, s31
	v_or_b32_e32 v67, 0x2000, v0
	s_delay_alu instid0(VALU_DEP_1) | instskip(NEXT) | instid1(VALU_DEP_1)
	v_cmp_gt_u32_e64 s30, s64, v67
                                        ; implicit-def: $vgpr67_vgpr68
	s_and_saveexec_b32 s33, s30
	s_cbranch_execz .LBB4_73
; %bb.72:
	v_add_co_u32 v67, s31, 0x10000, v1
	s_delay_alu instid0(VALU_DEP_1)
	v_add_co_ci_u32_e64 v68, s31, 0, v2, s31
	global_load_b64 v[67:68], v[67:68], off
.LBB4_73:
	s_or_b32 exec_lo, exec_lo, s33
	v_or_b32_e32 v69, 0x2100, v0
	s_delay_alu instid0(VALU_DEP_1) | instskip(NEXT) | instid1(VALU_DEP_1)
	v_cmp_gt_u32_e64 s31, s64, v69
                                        ; implicit-def: $vgpr69_vgpr70
	s_and_saveexec_b32 s34, s31
	s_cbranch_execz .LBB4_75
; %bb.74:
	v_add_co_u32 v69, s33, 0x10000, v1
	s_delay_alu instid0(VALU_DEP_1)
	v_add_co_ci_u32_e64 v70, s33, 0, v2, s33
	global_load_b64 v[69:70], v[69:70], off offset:2048
.LBB4_75:
	s_or_b32 exec_lo, exec_lo, s34
	v_or_b32_e32 v71, 0x2200, v0
	s_delay_alu instid0(VALU_DEP_1) | instskip(NEXT) | instid1(VALU_DEP_1)
	v_cmp_gt_u32_e64 s33, s64, v71
                                        ; implicit-def: $vgpr71_vgpr72
	s_and_saveexec_b32 s35, s33
	s_cbranch_execz .LBB4_77
; %bb.76:
	v_add_co_u32 v71, s34, 0x11000, v1
	s_delay_alu instid0(VALU_DEP_1)
	v_add_co_ci_u32_e64 v72, s34, 0, v2, s34
	global_load_b64 v[71:72], v[71:72], off
.LBB4_77:
	s_or_b32 exec_lo, exec_lo, s35
	v_or_b32_e32 v73, 0x2300, v0
	s_delay_alu instid0(VALU_DEP_1) | instskip(NEXT) | instid1(VALU_DEP_1)
	v_cmp_gt_u32_e64 s34, s64, v73
                                        ; implicit-def: $vgpr73_vgpr74
	s_and_saveexec_b32 s36, s34
	s_cbranch_execz .LBB4_79
; %bb.78:
	v_add_co_u32 v73, s35, 0x11000, v1
	s_delay_alu instid0(VALU_DEP_1)
	v_add_co_ci_u32_e64 v74, s35, 0, v2, s35
	global_load_b64 v[73:74], v[73:74], off offset:2048
.LBB4_79:
	s_or_b32 exec_lo, exec_lo, s36
	v_or_b32_e32 v75, 0x2400, v0
	s_delay_alu instid0(VALU_DEP_1) | instskip(NEXT) | instid1(VALU_DEP_1)
	v_cmp_gt_u32_e64 s35, s64, v75
                                        ; implicit-def: $vgpr75_vgpr76
	s_and_saveexec_b32 s37, s35
	s_cbranch_execz .LBB4_81
; %bb.80:
	v_add_co_u32 v75, s36, 0x12000, v1
	s_delay_alu instid0(VALU_DEP_1)
	v_add_co_ci_u32_e64 v76, s36, 0, v2, s36
	global_load_b64 v[75:76], v[75:76], off
.LBB4_81:
	s_or_b32 exec_lo, exec_lo, s37
	v_or_b32_e32 v77, 0x2500, v0
	s_delay_alu instid0(VALU_DEP_1) | instskip(NEXT) | instid1(VALU_DEP_1)
	v_cmp_gt_u32_e64 s36, s64, v77
                                        ; implicit-def: $vgpr77_vgpr78
	s_and_saveexec_b32 s38, s36
	s_cbranch_execz .LBB4_83
; %bb.82:
	v_add_co_u32 v77, s37, 0x12000, v1
	s_delay_alu instid0(VALU_DEP_1)
	v_add_co_ci_u32_e64 v78, s37, 0, v2, s37
	global_load_b64 v[77:78], v[77:78], off offset:2048
.LBB4_83:
	s_or_b32 exec_lo, exec_lo, s38
	v_or_b32_e32 v79, 0x2600, v0
	s_delay_alu instid0(VALU_DEP_1) | instskip(NEXT) | instid1(VALU_DEP_1)
	v_cmp_gt_u32_e64 s37, s64, v79
                                        ; implicit-def: $vgpr79_vgpr80
	s_and_saveexec_b32 s39, s37
	s_cbranch_execz .LBB4_85
; %bb.84:
	v_add_co_u32 v79, s38, 0x13000, v1
	s_delay_alu instid0(VALU_DEP_1)
	v_add_co_ci_u32_e64 v80, s38, 0, v2, s38
	global_load_b64 v[79:80], v[79:80], off
.LBB4_85:
	s_or_b32 exec_lo, exec_lo, s39
	v_or_b32_e32 v81, 0x2700, v0
	s_delay_alu instid0(VALU_DEP_1) | instskip(NEXT) | instid1(VALU_DEP_1)
	v_cmp_gt_u32_e64 s38, s64, v81
                                        ; implicit-def: $vgpr81_vgpr82
	s_and_saveexec_b32 s40, s38
	s_cbranch_execz .LBB4_87
; %bb.86:
	v_add_co_u32 v81, s39, 0x13000, v1
	s_delay_alu instid0(VALU_DEP_1)
	v_add_co_ci_u32_e64 v82, s39, 0, v2, s39
	global_load_b64 v[81:82], v[81:82], off offset:2048
.LBB4_87:
	s_or_b32 exec_lo, exec_lo, s40
	v_or_b32_e32 v83, 0x2800, v0
	s_delay_alu instid0(VALU_DEP_1) | instskip(NEXT) | instid1(VALU_DEP_1)
	v_cmp_gt_u32_e64 s39, s64, v83
                                        ; implicit-def: $vgpr83_vgpr84
	s_and_saveexec_b32 s41, s39
	s_cbranch_execz .LBB4_89
; %bb.88:
	v_add_co_u32 v83, s40, 0x14000, v1
	s_delay_alu instid0(VALU_DEP_1)
	v_add_co_ci_u32_e64 v84, s40, 0, v2, s40
	global_load_b64 v[83:84], v[83:84], off
.LBB4_89:
	s_or_b32 exec_lo, exec_lo, s41
	v_or_b32_e32 v85, 0x2900, v0
	s_delay_alu instid0(VALU_DEP_1) | instskip(NEXT) | instid1(VALU_DEP_1)
	v_cmp_gt_u32_e64 s40, s64, v85
                                        ; implicit-def: $vgpr85_vgpr86
	s_and_saveexec_b32 s42, s40
	s_cbranch_execz .LBB4_91
; %bb.90:
	v_add_co_u32 v85, s41, 0x14000, v1
	s_delay_alu instid0(VALU_DEP_1)
	v_add_co_ci_u32_e64 v86, s41, 0, v2, s41
	global_load_b64 v[85:86], v[85:86], off offset:2048
.LBB4_91:
	s_or_b32 exec_lo, exec_lo, s42
	v_or_b32_e32 v87, 0x2a00, v0
	s_delay_alu instid0(VALU_DEP_1) | instskip(NEXT) | instid1(VALU_DEP_1)
	v_cmp_gt_u32_e64 s41, s64, v87
                                        ; implicit-def: $vgpr87_vgpr88
	s_and_saveexec_b32 s43, s41
	s_cbranch_execz .LBB4_93
; %bb.92:
	v_add_co_u32 v87, s42, 0x15000, v1
	s_delay_alu instid0(VALU_DEP_1)
	v_add_co_ci_u32_e64 v88, s42, 0, v2, s42
	global_load_b64 v[87:88], v[87:88], off
.LBB4_93:
	s_or_b32 exec_lo, exec_lo, s43
	v_or_b32_e32 v89, 0x2b00, v0
	s_delay_alu instid0(VALU_DEP_1) | instskip(NEXT) | instid1(VALU_DEP_1)
	v_cmp_gt_u32_e64 s42, s64, v89
                                        ; implicit-def: $vgpr89_vgpr90
	s_and_saveexec_b32 s44, s42
	s_cbranch_execz .LBB4_95
; %bb.94:
	v_add_co_u32 v89, s43, 0x15000, v1
	s_delay_alu instid0(VALU_DEP_1)
	v_add_co_ci_u32_e64 v90, s43, 0, v2, s43
	global_load_b64 v[89:90], v[89:90], off offset:2048
.LBB4_95:
	s_or_b32 exec_lo, exec_lo, s44
	v_or_b32_e32 v91, 0x2c00, v0
	s_delay_alu instid0(VALU_DEP_1) | instskip(NEXT) | instid1(VALU_DEP_1)
	v_cmp_gt_u32_e64 s43, s64, v91
                                        ; implicit-def: $vgpr91_vgpr92
	s_and_saveexec_b32 s45, s43
	s_cbranch_execz .LBB4_97
; %bb.96:
	v_add_co_u32 v91, s44, 0x16000, v1
	s_delay_alu instid0(VALU_DEP_1)
	v_add_co_ci_u32_e64 v92, s44, 0, v2, s44
	global_load_b64 v[91:92], v[91:92], off
.LBB4_97:
	s_or_b32 exec_lo, exec_lo, s45
	v_or_b32_e32 v93, 0x2d00, v0
	s_delay_alu instid0(VALU_DEP_1) | instskip(NEXT) | instid1(VALU_DEP_1)
	v_cmp_gt_u32_e64 s44, s64, v93
                                        ; implicit-def: $vgpr93_vgpr94
	s_and_saveexec_b32 s46, s44
	s_cbranch_execz .LBB4_99
; %bb.98:
	v_add_co_u32 v93, s45, 0x16000, v1
	s_delay_alu instid0(VALU_DEP_1)
	v_add_co_ci_u32_e64 v94, s45, 0, v2, s45
	global_load_b64 v[93:94], v[93:94], off offset:2048
.LBB4_99:
	s_or_b32 exec_lo, exec_lo, s46
	v_or_b32_e32 v95, 0x2e00, v0
	s_delay_alu instid0(VALU_DEP_1) | instskip(NEXT) | instid1(VALU_DEP_1)
	v_cmp_gt_u32_e64 s45, s64, v95
                                        ; implicit-def: $vgpr95_vgpr96
	s_and_saveexec_b32 s47, s45
	s_cbranch_execz .LBB4_101
; %bb.100:
	v_add_co_u32 v95, s46, 0x17000, v1
	s_delay_alu instid0(VALU_DEP_1)
	v_add_co_ci_u32_e64 v96, s46, 0, v2, s46
	global_load_b64 v[95:96], v[95:96], off
.LBB4_101:
	s_or_b32 exec_lo, exec_lo, s47
	v_or_b32_e32 v97, 0x2f00, v0
	s_delay_alu instid0(VALU_DEP_1) | instskip(NEXT) | instid1(VALU_DEP_1)
	v_cmp_gt_u32_e64 s46, s64, v97
                                        ; implicit-def: $vgpr97_vgpr98
	s_and_saveexec_b32 s48, s46
	s_cbranch_execz .LBB4_103
; %bb.102:
	v_add_co_u32 v97, s47, 0x17000, v1
	s_delay_alu instid0(VALU_DEP_1)
	v_add_co_ci_u32_e64 v98, s47, 0, v2, s47
	global_load_b64 v[97:98], v[97:98], off offset:2048
.LBB4_103:
	s_or_b32 exec_lo, exec_lo, s48
	v_or_b32_e32 v99, 0x3000, v0
	s_delay_alu instid0(VALU_DEP_1) | instskip(NEXT) | instid1(VALU_DEP_1)
	v_cmp_gt_u32_e64 s47, s64, v99
                                        ; implicit-def: $vgpr99_vgpr100
	s_and_saveexec_b32 s49, s47
	s_cbranch_execz .LBB4_105
; %bb.104:
	v_add_co_u32 v99, s48, 0x18000, v1
	s_delay_alu instid0(VALU_DEP_1)
	v_add_co_ci_u32_e64 v100, s48, 0, v2, s48
	global_load_b64 v[99:100], v[99:100], off
.LBB4_105:
	s_or_b32 exec_lo, exec_lo, s49
	v_or_b32_e32 v101, 0x3100, v0
	s_delay_alu instid0(VALU_DEP_1) | instskip(NEXT) | instid1(VALU_DEP_1)
	v_cmp_gt_u32_e64 s48, s64, v101
                                        ; implicit-def: $vgpr101_vgpr102
	s_and_saveexec_b32 s50, s48
	s_cbranch_execz .LBB4_107
; %bb.106:
	v_add_co_u32 v101, s49, 0x18000, v1
	s_delay_alu instid0(VALU_DEP_1)
	v_add_co_ci_u32_e64 v102, s49, 0, v2, s49
	global_load_b64 v[101:102], v[101:102], off offset:2048
.LBB4_107:
	s_or_b32 exec_lo, exec_lo, s50
	v_or_b32_e32 v103, 0x3200, v0
	s_delay_alu instid0(VALU_DEP_1) | instskip(NEXT) | instid1(VALU_DEP_1)
	v_cmp_gt_u32_e64 s49, s64, v103
                                        ; implicit-def: $vgpr103_vgpr104
	s_and_saveexec_b32 s51, s49
	s_cbranch_execz .LBB4_109
; %bb.108:
	v_add_co_u32 v103, s50, 0x19000, v1
	s_delay_alu instid0(VALU_DEP_1)
	v_add_co_ci_u32_e64 v104, s50, 0, v2, s50
	global_load_b64 v[103:104], v[103:104], off
.LBB4_109:
	s_or_b32 exec_lo, exec_lo, s51
	v_or_b32_e32 v105, 0x3300, v0
	s_delay_alu instid0(VALU_DEP_1) | instskip(NEXT) | instid1(VALU_DEP_1)
	v_cmp_gt_u32_e64 s50, s64, v105
                                        ; implicit-def: $vgpr105_vgpr106
	s_and_saveexec_b32 s52, s50
	s_cbranch_execz .LBB4_111
; %bb.110:
	v_add_co_u32 v105, s51, 0x19000, v1
	s_delay_alu instid0(VALU_DEP_1)
	v_add_co_ci_u32_e64 v106, s51, 0, v2, s51
	global_load_b64 v[105:106], v[105:106], off offset:2048
.LBB4_111:
	s_or_b32 exec_lo, exec_lo, s52
	v_or_b32_e32 v107, 0x3400, v0
	s_delay_alu instid0(VALU_DEP_1) | instskip(NEXT) | instid1(VALU_DEP_1)
	v_cmp_gt_u32_e64 s51, s64, v107
                                        ; implicit-def: $vgpr107_vgpr108
	s_and_saveexec_b32 s53, s51
	s_cbranch_execz .LBB4_113
; %bb.112:
	v_add_co_u32 v107, s52, 0x1a000, v1
	s_delay_alu instid0(VALU_DEP_1)
	v_add_co_ci_u32_e64 v108, s52, 0, v2, s52
	global_load_b64 v[107:108], v[107:108], off
.LBB4_113:
	s_or_b32 exec_lo, exec_lo, s53
	v_or_b32_e32 v109, 0x3500, v0
	s_delay_alu instid0(VALU_DEP_1) | instskip(NEXT) | instid1(VALU_DEP_1)
	v_cmp_gt_u32_e64 s52, s64, v109
                                        ; implicit-def: $vgpr109_vgpr110
	s_and_saveexec_b32 s54, s52
	s_cbranch_execz .LBB4_115
; %bb.114:
	v_add_co_u32 v109, s53, 0x1a000, v1
	s_delay_alu instid0(VALU_DEP_1)
	v_add_co_ci_u32_e64 v110, s53, 0, v2, s53
	global_load_b64 v[109:110], v[109:110], off offset:2048
.LBB4_115:
	s_or_b32 exec_lo, exec_lo, s54
	v_or_b32_e32 v111, 0x3600, v0
	s_delay_alu instid0(VALU_DEP_1) | instskip(NEXT) | instid1(VALU_DEP_1)
	v_cmp_gt_u32_e64 s53, s64, v111
                                        ; implicit-def: $vgpr111_vgpr112
	s_and_saveexec_b32 s55, s53
	s_cbranch_execz .LBB4_117
; %bb.116:
	v_add_co_u32 v111, s54, 0x1b000, v1
	s_delay_alu instid0(VALU_DEP_1)
	v_add_co_ci_u32_e64 v112, s54, 0, v2, s54
	global_load_b64 v[111:112], v[111:112], off
.LBB4_117:
	s_or_b32 exec_lo, exec_lo, s55
	v_or_b32_e32 v113, 0x3700, v0
	s_delay_alu instid0(VALU_DEP_1) | instskip(NEXT) | instid1(VALU_DEP_1)
	v_cmp_gt_u32_e64 s54, s64, v113
                                        ; implicit-def: $vgpr113_vgpr114
	s_and_saveexec_b32 s56, s54
	s_cbranch_execz .LBB4_119
; %bb.118:
	v_add_co_u32 v113, s55, 0x1b000, v1
	s_delay_alu instid0(VALU_DEP_1)
	v_add_co_ci_u32_e64 v114, s55, 0, v2, s55
	global_load_b64 v[113:114], v[113:114], off offset:2048
.LBB4_119:
	s_or_b32 exec_lo, exec_lo, s56
	v_or_b32_e32 v115, 0x3800, v0
	s_delay_alu instid0(VALU_DEP_1) | instskip(NEXT) | instid1(VALU_DEP_1)
	v_cmp_gt_u32_e64 s55, s64, v115
                                        ; implicit-def: $vgpr115_vgpr116
	s_and_saveexec_b32 s57, s55
	s_cbranch_execz .LBB4_121
; %bb.120:
	v_add_co_u32 v115, s56, 0x1c000, v1
	s_delay_alu instid0(VALU_DEP_1)
	v_add_co_ci_u32_e64 v116, s56, 0, v2, s56
	global_load_b64 v[115:116], v[115:116], off
.LBB4_121:
	s_or_b32 exec_lo, exec_lo, s57
	v_or_b32_e32 v117, 0x3900, v0
	s_delay_alu instid0(VALU_DEP_1) | instskip(NEXT) | instid1(VALU_DEP_1)
	v_cmp_gt_u32_e64 s56, s64, v117
                                        ; implicit-def: $vgpr117_vgpr118
	s_and_saveexec_b32 s58, s56
	s_cbranch_execz .LBB4_123
; %bb.122:
	v_add_co_u32 v117, s57, 0x1c000, v1
	s_delay_alu instid0(VALU_DEP_1)
	v_add_co_ci_u32_e64 v118, s57, 0, v2, s57
	global_load_b64 v[117:118], v[117:118], off offset:2048
.LBB4_123:
	s_or_b32 exec_lo, exec_lo, s58
	v_or_b32_e32 v119, 0x3a00, v0
	s_delay_alu instid0(VALU_DEP_1) | instskip(NEXT) | instid1(VALU_DEP_1)
	v_cmp_gt_u32_e64 s57, s64, v119
                                        ; implicit-def: $vgpr119_vgpr120
	s_and_saveexec_b32 s59, s57
	s_cbranch_execz .LBB4_125
; %bb.124:
	v_add_co_u32 v119, s58, 0x1d000, v1
	s_delay_alu instid0(VALU_DEP_1)
	v_add_co_ci_u32_e64 v120, s58, 0, v2, s58
	global_load_b64 v[119:120], v[119:120], off
.LBB4_125:
	s_or_b32 exec_lo, exec_lo, s59
	v_or_b32_e32 v121, 0x3b00, v0
	s_delay_alu instid0(VALU_DEP_1) | instskip(NEXT) | instid1(VALU_DEP_1)
	v_cmp_gt_u32_e64 s58, s64, v121
                                        ; implicit-def: $vgpr121_vgpr122
	s_and_saveexec_b32 s60, s58
	s_cbranch_execz .LBB4_127
; %bb.126:
	v_add_co_u32 v121, s59, 0x1d000, v1
	s_delay_alu instid0(VALU_DEP_1)
	v_add_co_ci_u32_e64 v122, s59, 0, v2, s59
	global_load_b64 v[121:122], v[121:122], off offset:2048
.LBB4_127:
	s_or_b32 exec_lo, exec_lo, s60
	v_or_b32_e32 v123, 0x3c00, v0
	s_delay_alu instid0(VALU_DEP_1) | instskip(NEXT) | instid1(VALU_DEP_1)
	v_cmp_gt_u32_e64 s59, s64, v123
                                        ; implicit-def: $vgpr123_vgpr124
	s_and_saveexec_b32 s61, s59
	s_cbranch_execz .LBB4_129
; %bb.128:
	v_add_co_u32 v123, s60, 0x1e000, v1
	s_delay_alu instid0(VALU_DEP_1)
	v_add_co_ci_u32_e64 v124, s60, 0, v2, s60
	global_load_b64 v[123:124], v[123:124], off
.LBB4_129:
	s_or_b32 exec_lo, exec_lo, s61
	v_or_b32_e32 v125, 0x3d00, v0
	s_delay_alu instid0(VALU_DEP_1) | instskip(NEXT) | instid1(VALU_DEP_1)
	v_cmp_gt_u32_e64 s60, s64, v125
                                        ; implicit-def: $vgpr125_vgpr126
	s_and_saveexec_b32 s62, s60
	s_cbranch_execz .LBB4_131
; %bb.130:
	v_add_co_u32 v125, s61, 0x1e000, v1
	s_delay_alu instid0(VALU_DEP_1)
	v_add_co_ci_u32_e64 v126, s61, 0, v2, s61
	global_load_b64 v[125:126], v[125:126], off offset:2048
.LBB4_131:
	s_or_b32 exec_lo, exec_lo, s62
	v_or_b32_e32 v127, 0x3e00, v0
	s_delay_alu instid0(VALU_DEP_1) | instskip(NEXT) | instid1(VALU_DEP_1)
	v_cmp_gt_u32_e64 s61, s64, v127
                                        ; implicit-def: $vgpr127_vgpr128
	s_and_saveexec_b32 s63, s61
	s_cbranch_execz .LBB4_133
; %bb.132:
	v_add_co_u32 v127, s62, 0x1f000, v1
	s_delay_alu instid0(VALU_DEP_1)
	v_add_co_ci_u32_e64 v128, s62, 0, v2, s62
	global_load_b64 v[127:128], v[127:128], off
.LBB4_133:
	s_or_b32 exec_lo, exec_lo, s63
	v_or_b32_e32 v129, 0x3f00, v0
	s_delay_alu instid0(VALU_DEP_1) | instskip(NEXT) | instid1(VALU_DEP_1)
	v_cmp_gt_u32_e64 s62, s64, v129
                                        ; implicit-def: $vgpr129_vgpr130
	s_and_saveexec_b32 s65, s62
	s_cbranch_execz .LBB4_135
; %bb.134:
	v_add_co_u32 v1, s63, 0x1f000, v1
	s_delay_alu instid0(VALU_DEP_1)
	v_add_co_ci_u32_e64 v2, s63, 0, v2, s63
	global_load_b64 v[129:130], v[1:2], off offset:2048
.LBB4_135:
	s_or_b32 exec_lo, exec_lo, s65
	s_waitcnt vmcnt(0)
	v_add_f64 v[1:2], v[3:4], v[5:6]
	v_add_nc_u32_e32 v6, 1, v131
	s_delay_alu instid0(VALU_DEP_2) | instskip(SKIP_1) | instid1(VALU_DEP_2)
	v_dual_cndmask_b32 v2, v4, v2 :: v_dual_cndmask_b32 v1, v3, v1
	v_cmp_ne_u32_e32 vcc_lo, 31, v131
	v_add_f64 v[3:4], v[1:2], v[7:8]
	v_add_co_ci_u32_e32 v5, vcc_lo, 0, v131, vcc_lo
	s_delay_alu instid0(VALU_DEP_1) | instskip(NEXT) | instid1(VALU_DEP_3)
	v_lshlrev_b32_e32 v5, 2, v5
	v_cndmask_b32_e64 v2, v2, v4, s0
	s_delay_alu instid0(VALU_DEP_4) | instskip(SKIP_1) | instid1(VALU_DEP_1)
	v_cndmask_b32_e64 v1, v1, v3, s0
	s_min_u32 s0, s64, 0x100
	v_add_f64 v[3:4], v[1:2], v[9:10]
	s_delay_alu instid0(VALU_DEP_1) | instskip(NEXT) | instid1(VALU_DEP_2)
	v_cndmask_b32_e64 v2, v2, v4, s1
	v_cndmask_b32_e64 v1, v1, v3, s1
	s_mov_b32 s1, exec_lo
	s_delay_alu instid0(VALU_DEP_1) | instskip(NEXT) | instid1(VALU_DEP_1)
	v_add_f64 v[3:4], v[1:2], v[11:12]
	v_cndmask_b32_e64 v2, v2, v4, s2
	s_delay_alu instid0(VALU_DEP_2) | instskip(NEXT) | instid1(VALU_DEP_1)
	v_cndmask_b32_e64 v1, v1, v3, s2
	v_add_f64 v[3:4], v[1:2], v[13:14]
	s_delay_alu instid0(VALU_DEP_1) | instskip(NEXT) | instid1(VALU_DEP_2)
	v_cndmask_b32_e64 v2, v2, v4, s3
	v_cndmask_b32_e64 v1, v1, v3, s3
	s_delay_alu instid0(VALU_DEP_1) | instskip(NEXT) | instid1(VALU_DEP_1)
	v_add_f64 v[3:4], v[1:2], v[15:16]
	v_cndmask_b32_e64 v2, v2, v4, s4
	s_delay_alu instid0(VALU_DEP_2) | instskip(NEXT) | instid1(VALU_DEP_1)
	v_cndmask_b32_e64 v1, v1, v3, s4
	v_add_f64 v[3:4], v[1:2], v[17:18]
	s_delay_alu instid0(VALU_DEP_1) | instskip(NEXT) | instid1(VALU_DEP_2)
	v_cndmask_b32_e64 v2, v2, v4, s5
	v_cndmask_b32_e64 v1, v1, v3, s5
	s_delay_alu instid0(VALU_DEP_1) | instskip(NEXT) | instid1(VALU_DEP_1)
	v_add_f64 v[3:4], v[1:2], v[19:20]
	v_cndmask_b32_e64 v2, v2, v4, s6
	s_delay_alu instid0(VALU_DEP_2) | instskip(NEXT) | instid1(VALU_DEP_1)
	v_cndmask_b32_e64 v1, v1, v3, s6
	v_add_f64 v[3:4], v[1:2], v[21:22]
	s_delay_alu instid0(VALU_DEP_1) | instskip(NEXT) | instid1(VALU_DEP_2)
	v_cndmask_b32_e64 v2, v2, v4, s7
	v_cndmask_b32_e64 v1, v1, v3, s7
	s_delay_alu instid0(VALU_DEP_1) | instskip(NEXT) | instid1(VALU_DEP_1)
	v_add_f64 v[3:4], v[1:2], v[23:24]
	v_cndmask_b32_e64 v2, v2, v4, s8
	s_delay_alu instid0(VALU_DEP_2) | instskip(NEXT) | instid1(VALU_DEP_1)
	v_cndmask_b32_e64 v1, v1, v3, s8
	v_add_f64 v[3:4], v[1:2], v[25:26]
	s_delay_alu instid0(VALU_DEP_1) | instskip(NEXT) | instid1(VALU_DEP_2)
	v_cndmask_b32_e64 v2, v2, v4, s9
	v_cndmask_b32_e64 v1, v1, v3, s9
	s_delay_alu instid0(VALU_DEP_1) | instskip(NEXT) | instid1(VALU_DEP_1)
	v_add_f64 v[3:4], v[1:2], v[27:28]
	v_cndmask_b32_e64 v2, v2, v4, s10
	s_delay_alu instid0(VALU_DEP_2) | instskip(NEXT) | instid1(VALU_DEP_1)
	v_cndmask_b32_e64 v1, v1, v3, s10
	v_add_f64 v[3:4], v[1:2], v[29:30]
	s_delay_alu instid0(VALU_DEP_1) | instskip(NEXT) | instid1(VALU_DEP_2)
	v_cndmask_b32_e64 v2, v2, v4, s11
	v_cndmask_b32_e64 v1, v1, v3, s11
	s_delay_alu instid0(VALU_DEP_1) | instskip(NEXT) | instid1(VALU_DEP_1)
	v_add_f64 v[3:4], v[1:2], v[31:32]
	v_cndmask_b32_e64 v2, v2, v4, s12
	s_delay_alu instid0(VALU_DEP_2) | instskip(NEXT) | instid1(VALU_DEP_1)
	v_cndmask_b32_e64 v1, v1, v3, s12
	v_add_f64 v[3:4], v[1:2], v[33:34]
	s_delay_alu instid0(VALU_DEP_1) | instskip(NEXT) | instid1(VALU_DEP_2)
	v_cndmask_b32_e64 v2, v2, v4, s13
	v_cndmask_b32_e64 v1, v1, v3, s13
	s_delay_alu instid0(VALU_DEP_1) | instskip(NEXT) | instid1(VALU_DEP_1)
	v_add_f64 v[3:4], v[1:2], v[35:36]
	v_cndmask_b32_e64 v2, v2, v4, s14
	s_delay_alu instid0(VALU_DEP_2) | instskip(NEXT) | instid1(VALU_DEP_1)
	v_cndmask_b32_e64 v1, v1, v3, s14
	v_add_f64 v[3:4], v[1:2], v[37:38]
	s_delay_alu instid0(VALU_DEP_1) | instskip(NEXT) | instid1(VALU_DEP_2)
	v_cndmask_b32_e64 v2, v2, v4, s15
	v_cndmask_b32_e64 v1, v1, v3, s15
	s_delay_alu instid0(VALU_DEP_1) | instskip(NEXT) | instid1(VALU_DEP_1)
	v_add_f64 v[3:4], v[1:2], v[39:40]
	v_cndmask_b32_e64 v2, v2, v4, s16
	s_delay_alu instid0(VALU_DEP_2) | instskip(NEXT) | instid1(VALU_DEP_1)
	v_cndmask_b32_e64 v1, v1, v3, s16
	v_add_f64 v[3:4], v[1:2], v[41:42]
	s_delay_alu instid0(VALU_DEP_1) | instskip(NEXT) | instid1(VALU_DEP_2)
	v_cndmask_b32_e64 v2, v2, v4, s17
	v_cndmask_b32_e64 v1, v1, v3, s17
	s_delay_alu instid0(VALU_DEP_1) | instskip(NEXT) | instid1(VALU_DEP_1)
	v_add_f64 v[3:4], v[1:2], v[43:44]
	v_cndmask_b32_e64 v2, v2, v4, s18
	s_delay_alu instid0(VALU_DEP_2) | instskip(NEXT) | instid1(VALU_DEP_1)
	v_cndmask_b32_e64 v1, v1, v3, s18
	v_add_f64 v[3:4], v[1:2], v[45:46]
	s_delay_alu instid0(VALU_DEP_1) | instskip(NEXT) | instid1(VALU_DEP_2)
	v_cndmask_b32_e64 v2, v2, v4, s19
	v_cndmask_b32_e64 v1, v1, v3, s19
	s_delay_alu instid0(VALU_DEP_1) | instskip(NEXT) | instid1(VALU_DEP_1)
	v_add_f64 v[3:4], v[1:2], v[47:48]
	v_cndmask_b32_e64 v2, v2, v4, s20
	s_delay_alu instid0(VALU_DEP_2) | instskip(NEXT) | instid1(VALU_DEP_1)
	v_cndmask_b32_e64 v1, v1, v3, s20
	v_add_f64 v[3:4], v[1:2], v[49:50]
	s_delay_alu instid0(VALU_DEP_1) | instskip(NEXT) | instid1(VALU_DEP_2)
	v_cndmask_b32_e64 v2, v2, v4, s21
	v_cndmask_b32_e64 v1, v1, v3, s21
	s_delay_alu instid0(VALU_DEP_1) | instskip(NEXT) | instid1(VALU_DEP_1)
	v_add_f64 v[3:4], v[1:2], v[51:52]
	v_cndmask_b32_e64 v2, v2, v4, s22
	s_delay_alu instid0(VALU_DEP_2) | instskip(NEXT) | instid1(VALU_DEP_1)
	v_cndmask_b32_e64 v1, v1, v3, s22
	v_add_f64 v[3:4], v[1:2], v[53:54]
	s_delay_alu instid0(VALU_DEP_1) | instskip(NEXT) | instid1(VALU_DEP_2)
	v_cndmask_b32_e64 v2, v2, v4, s23
	v_cndmask_b32_e64 v1, v1, v3, s23
	s_delay_alu instid0(VALU_DEP_1) | instskip(NEXT) | instid1(VALU_DEP_1)
	v_add_f64 v[3:4], v[1:2], v[55:56]
	v_cndmask_b32_e64 v2, v2, v4, s24
	s_delay_alu instid0(VALU_DEP_2) | instskip(NEXT) | instid1(VALU_DEP_1)
	v_cndmask_b32_e64 v1, v1, v3, s24
	v_add_f64 v[3:4], v[1:2], v[57:58]
	s_delay_alu instid0(VALU_DEP_1) | instskip(NEXT) | instid1(VALU_DEP_2)
	v_cndmask_b32_e64 v2, v2, v4, s25
	v_cndmask_b32_e64 v1, v1, v3, s25
	s_delay_alu instid0(VALU_DEP_1) | instskip(NEXT) | instid1(VALU_DEP_1)
	v_add_f64 v[3:4], v[1:2], v[59:60]
	v_cndmask_b32_e64 v2, v2, v4, s26
	s_delay_alu instid0(VALU_DEP_2) | instskip(NEXT) | instid1(VALU_DEP_1)
	v_cndmask_b32_e64 v1, v1, v3, s26
	v_add_f64 v[3:4], v[1:2], v[61:62]
	s_delay_alu instid0(VALU_DEP_1) | instskip(NEXT) | instid1(VALU_DEP_2)
	v_cndmask_b32_e64 v2, v2, v4, s27
	v_cndmask_b32_e64 v1, v1, v3, s27
	s_delay_alu instid0(VALU_DEP_1) | instskip(NEXT) | instid1(VALU_DEP_1)
	v_add_f64 v[3:4], v[1:2], v[63:64]
	v_cndmask_b32_e64 v2, v2, v4, s28
	s_delay_alu instid0(VALU_DEP_2) | instskip(NEXT) | instid1(VALU_DEP_1)
	v_cndmask_b32_e64 v1, v1, v3, s28
	v_add_f64 v[3:4], v[1:2], v[65:66]
	s_delay_alu instid0(VALU_DEP_1) | instskip(NEXT) | instid1(VALU_DEP_2)
	v_cndmask_b32_e64 v2, v2, v4, s29
	v_cndmask_b32_e64 v1, v1, v3, s29
	s_delay_alu instid0(VALU_DEP_1) | instskip(NEXT) | instid1(VALU_DEP_1)
	v_add_f64 v[3:4], v[1:2], v[67:68]
	v_cndmask_b32_e64 v2, v2, v4, s30
	s_delay_alu instid0(VALU_DEP_2) | instskip(NEXT) | instid1(VALU_DEP_1)
	v_cndmask_b32_e64 v1, v1, v3, s30
	v_add_f64 v[3:4], v[1:2], v[69:70]
	s_delay_alu instid0(VALU_DEP_1) | instskip(NEXT) | instid1(VALU_DEP_2)
	v_cndmask_b32_e64 v2, v2, v4, s31
	v_cndmask_b32_e64 v1, v1, v3, s31
	s_delay_alu instid0(VALU_DEP_1) | instskip(NEXT) | instid1(VALU_DEP_1)
	v_add_f64 v[3:4], v[1:2], v[71:72]
	v_cndmask_b32_e64 v2, v2, v4, s33
	s_delay_alu instid0(VALU_DEP_2) | instskip(NEXT) | instid1(VALU_DEP_1)
	v_cndmask_b32_e64 v1, v1, v3, s33
	v_add_f64 v[3:4], v[1:2], v[73:74]
	s_delay_alu instid0(VALU_DEP_1) | instskip(NEXT) | instid1(VALU_DEP_2)
	v_cndmask_b32_e64 v2, v2, v4, s34
	v_cndmask_b32_e64 v1, v1, v3, s34
	s_delay_alu instid0(VALU_DEP_1) | instskip(NEXT) | instid1(VALU_DEP_1)
	v_add_f64 v[3:4], v[1:2], v[75:76]
	v_cndmask_b32_e64 v2, v2, v4, s35
	s_delay_alu instid0(VALU_DEP_2) | instskip(NEXT) | instid1(VALU_DEP_1)
	v_cndmask_b32_e64 v1, v1, v3, s35
	v_add_f64 v[3:4], v[1:2], v[77:78]
	s_delay_alu instid0(VALU_DEP_1) | instskip(NEXT) | instid1(VALU_DEP_2)
	v_cndmask_b32_e64 v2, v2, v4, s36
	v_cndmask_b32_e64 v1, v1, v3, s36
	s_delay_alu instid0(VALU_DEP_1) | instskip(NEXT) | instid1(VALU_DEP_1)
	v_add_f64 v[3:4], v[1:2], v[79:80]
	v_cndmask_b32_e64 v2, v2, v4, s37
	s_delay_alu instid0(VALU_DEP_2) | instskip(NEXT) | instid1(VALU_DEP_1)
	v_cndmask_b32_e64 v1, v1, v3, s37
	v_add_f64 v[3:4], v[1:2], v[81:82]
	s_delay_alu instid0(VALU_DEP_1) | instskip(NEXT) | instid1(VALU_DEP_2)
	v_cndmask_b32_e64 v2, v2, v4, s38
	v_cndmask_b32_e64 v1, v1, v3, s38
	s_delay_alu instid0(VALU_DEP_1) | instskip(NEXT) | instid1(VALU_DEP_1)
	v_add_f64 v[3:4], v[1:2], v[83:84]
	v_cndmask_b32_e64 v2, v2, v4, s39
	s_delay_alu instid0(VALU_DEP_2) | instskip(NEXT) | instid1(VALU_DEP_1)
	v_cndmask_b32_e64 v1, v1, v3, s39
	v_add_f64 v[3:4], v[1:2], v[85:86]
	s_delay_alu instid0(VALU_DEP_1) | instskip(NEXT) | instid1(VALU_DEP_2)
	v_cndmask_b32_e64 v2, v2, v4, s40
	v_cndmask_b32_e64 v1, v1, v3, s40
	s_delay_alu instid0(VALU_DEP_1) | instskip(NEXT) | instid1(VALU_DEP_1)
	v_add_f64 v[3:4], v[1:2], v[87:88]
	v_cndmask_b32_e64 v2, v2, v4, s41
	s_delay_alu instid0(VALU_DEP_2) | instskip(NEXT) | instid1(VALU_DEP_1)
	v_cndmask_b32_e64 v1, v1, v3, s41
	v_add_f64 v[3:4], v[1:2], v[89:90]
	s_delay_alu instid0(VALU_DEP_1) | instskip(NEXT) | instid1(VALU_DEP_2)
	v_cndmask_b32_e64 v2, v2, v4, s42
	v_cndmask_b32_e64 v1, v1, v3, s42
	s_delay_alu instid0(VALU_DEP_1) | instskip(NEXT) | instid1(VALU_DEP_1)
	v_add_f64 v[3:4], v[1:2], v[91:92]
	v_cndmask_b32_e64 v2, v2, v4, s43
	s_delay_alu instid0(VALU_DEP_2) | instskip(NEXT) | instid1(VALU_DEP_1)
	v_cndmask_b32_e64 v1, v1, v3, s43
	v_add_f64 v[3:4], v[1:2], v[93:94]
	s_delay_alu instid0(VALU_DEP_1) | instskip(NEXT) | instid1(VALU_DEP_2)
	v_cndmask_b32_e64 v2, v2, v4, s44
	v_cndmask_b32_e64 v1, v1, v3, s44
	s_delay_alu instid0(VALU_DEP_1) | instskip(NEXT) | instid1(VALU_DEP_1)
	v_add_f64 v[3:4], v[1:2], v[95:96]
	v_cndmask_b32_e64 v2, v2, v4, s45
	s_delay_alu instid0(VALU_DEP_2) | instskip(NEXT) | instid1(VALU_DEP_1)
	v_cndmask_b32_e64 v1, v1, v3, s45
	v_add_f64 v[3:4], v[1:2], v[97:98]
	s_delay_alu instid0(VALU_DEP_1) | instskip(NEXT) | instid1(VALU_DEP_2)
	v_cndmask_b32_e64 v2, v2, v4, s46
	v_cndmask_b32_e64 v1, v1, v3, s46
	s_delay_alu instid0(VALU_DEP_1) | instskip(NEXT) | instid1(VALU_DEP_1)
	v_add_f64 v[3:4], v[1:2], v[99:100]
	v_cndmask_b32_e64 v2, v2, v4, s47
	s_delay_alu instid0(VALU_DEP_2) | instskip(NEXT) | instid1(VALU_DEP_1)
	v_cndmask_b32_e64 v1, v1, v3, s47
	v_add_f64 v[3:4], v[1:2], v[101:102]
	s_delay_alu instid0(VALU_DEP_1) | instskip(NEXT) | instid1(VALU_DEP_2)
	v_cndmask_b32_e64 v2, v2, v4, s48
	v_cndmask_b32_e64 v1, v1, v3, s48
	s_delay_alu instid0(VALU_DEP_1) | instskip(NEXT) | instid1(VALU_DEP_1)
	v_add_f64 v[3:4], v[1:2], v[103:104]
	v_cndmask_b32_e64 v2, v2, v4, s49
	s_delay_alu instid0(VALU_DEP_2) | instskip(NEXT) | instid1(VALU_DEP_1)
	v_cndmask_b32_e64 v1, v1, v3, s49
	v_add_f64 v[3:4], v[1:2], v[105:106]
	s_delay_alu instid0(VALU_DEP_1) | instskip(NEXT) | instid1(VALU_DEP_2)
	v_cndmask_b32_e64 v2, v2, v4, s50
	v_cndmask_b32_e64 v1, v1, v3, s50
	s_delay_alu instid0(VALU_DEP_1) | instskip(NEXT) | instid1(VALU_DEP_1)
	v_add_f64 v[3:4], v[1:2], v[107:108]
	v_cndmask_b32_e64 v2, v2, v4, s51
	s_delay_alu instid0(VALU_DEP_2) | instskip(NEXT) | instid1(VALU_DEP_1)
	v_cndmask_b32_e64 v1, v1, v3, s51
	v_add_f64 v[3:4], v[1:2], v[109:110]
	s_delay_alu instid0(VALU_DEP_1) | instskip(NEXT) | instid1(VALU_DEP_2)
	v_cndmask_b32_e64 v2, v2, v4, s52
	v_cndmask_b32_e64 v1, v1, v3, s52
	s_delay_alu instid0(VALU_DEP_1) | instskip(NEXT) | instid1(VALU_DEP_1)
	v_add_f64 v[3:4], v[1:2], v[111:112]
	v_cndmask_b32_e64 v2, v2, v4, s53
	s_delay_alu instid0(VALU_DEP_2) | instskip(NEXT) | instid1(VALU_DEP_1)
	v_cndmask_b32_e64 v1, v1, v3, s53
	v_add_f64 v[3:4], v[1:2], v[113:114]
	s_delay_alu instid0(VALU_DEP_1) | instskip(NEXT) | instid1(VALU_DEP_2)
	v_cndmask_b32_e64 v2, v2, v4, s54
	v_cndmask_b32_e64 v1, v1, v3, s54
	s_delay_alu instid0(VALU_DEP_1) | instskip(NEXT) | instid1(VALU_DEP_1)
	v_add_f64 v[3:4], v[1:2], v[115:116]
	v_cndmask_b32_e64 v2, v2, v4, s55
	s_delay_alu instid0(VALU_DEP_2) | instskip(NEXT) | instid1(VALU_DEP_1)
	v_cndmask_b32_e64 v1, v1, v3, s55
	v_add_f64 v[3:4], v[1:2], v[117:118]
	s_delay_alu instid0(VALU_DEP_1) | instskip(NEXT) | instid1(VALU_DEP_2)
	v_cndmask_b32_e64 v2, v2, v4, s56
	v_cndmask_b32_e64 v1, v1, v3, s56
	s_delay_alu instid0(VALU_DEP_1) | instskip(NEXT) | instid1(VALU_DEP_1)
	v_add_f64 v[3:4], v[1:2], v[119:120]
	v_cndmask_b32_e64 v2, v2, v4, s57
	s_delay_alu instid0(VALU_DEP_2) | instskip(NEXT) | instid1(VALU_DEP_1)
	v_cndmask_b32_e64 v1, v1, v3, s57
	v_add_f64 v[3:4], v[1:2], v[121:122]
	s_delay_alu instid0(VALU_DEP_1) | instskip(NEXT) | instid1(VALU_DEP_2)
	v_cndmask_b32_e64 v2, v2, v4, s58
	v_cndmask_b32_e64 v1, v1, v3, s58
	s_delay_alu instid0(VALU_DEP_1) | instskip(NEXT) | instid1(VALU_DEP_1)
	v_add_f64 v[3:4], v[1:2], v[123:124]
	v_cndmask_b32_e64 v2, v2, v4, s59
	s_delay_alu instid0(VALU_DEP_2) | instskip(NEXT) | instid1(VALU_DEP_1)
	v_cndmask_b32_e64 v1, v1, v3, s59
	v_add_f64 v[3:4], v[1:2], v[125:126]
	s_delay_alu instid0(VALU_DEP_1) | instskip(NEXT) | instid1(VALU_DEP_2)
	v_cndmask_b32_e64 v2, v2, v4, s60
	v_cndmask_b32_e64 v1, v1, v3, s60
	s_delay_alu instid0(VALU_DEP_1) | instskip(NEXT) | instid1(VALU_DEP_1)
	v_add_f64 v[3:4], v[1:2], v[127:128]
	v_cndmask_b32_e64 v2, v2, v4, s61
	s_delay_alu instid0(VALU_DEP_2) | instskip(NEXT) | instid1(VALU_DEP_1)
	v_cndmask_b32_e64 v1, v1, v3, s61
	v_add_f64 v[3:4], v[1:2], v[129:130]
	s_delay_alu instid0(VALU_DEP_1) | instskip(NEXT) | instid1(VALU_DEP_2)
	v_cndmask_b32_e64 v3, v1, v3, s62
	v_cndmask_b32_e64 v4, v2, v4, s62
	ds_bpermute_b32 v1, v5, v3
	ds_bpermute_b32 v2, v5, v4
	v_and_b32_e32 v5, 0xe0, v0
	s_delay_alu instid0(VALU_DEP_1) | instskip(NEXT) | instid1(VALU_DEP_1)
	v_sub_nc_u32_e64 v5, s0, v5 clamp
	v_cmpx_lt_u32_e64 v6, v5
	s_cbranch_execz .LBB4_137
; %bb.136:
	s_waitcnt lgkmcnt(0)
	v_add_f64 v[3:4], v[3:4], v[1:2]
.LBB4_137:
	s_or_b32 exec_lo, exec_lo, s1
	v_cmp_gt_u32_e32 vcc_lo, 30, v131
	v_add_nc_u32_e32 v6, 2, v131
	s_mov_b32 s1, exec_lo
	s_waitcnt lgkmcnt(1)
	v_cndmask_b32_e64 v1, 0, 1, vcc_lo
	s_delay_alu instid0(VALU_DEP_1) | instskip(SKIP_1) | instid1(VALU_DEP_1)
	v_lshlrev_b32_e32 v1, 1, v1
	s_waitcnt lgkmcnt(0)
	v_add_lshl_u32 v2, v1, v131, 2
	ds_bpermute_b32 v1, v2, v3
	ds_bpermute_b32 v2, v2, v4
	v_cmpx_lt_u32_e64 v6, v5
	s_cbranch_execz .LBB4_139
; %bb.138:
	s_waitcnt lgkmcnt(0)
	v_add_f64 v[3:4], v[3:4], v[1:2]
.LBB4_139:
	s_or_b32 exec_lo, exec_lo, s1
	v_cmp_gt_u32_e32 vcc_lo, 28, v131
	v_add_nc_u32_e32 v6, 4, v131
	s_mov_b32 s1, exec_lo
	s_waitcnt lgkmcnt(1)
	v_cndmask_b32_e64 v1, 0, 1, vcc_lo
	s_delay_alu instid0(VALU_DEP_1) | instskip(SKIP_1) | instid1(VALU_DEP_1)
	v_lshlrev_b32_e32 v1, 2, v1
	s_waitcnt lgkmcnt(0)
	v_add_lshl_u32 v2, v1, v131, 2
	ds_bpermute_b32 v1, v2, v3
	ds_bpermute_b32 v2, v2, v4
	;; [unrolled: 18-line block ×4, first 2 shown]
	v_cmpx_lt_u32_e64 v6, v5
	s_cbranch_execz .LBB4_145
; %bb.144:
	s_waitcnt lgkmcnt(0)
	v_add_f64 v[3:4], v[3:4], v[1:2]
.LBB4_145:
	s_or_b32 exec_lo, exec_lo, s1
	s_delay_alu instid0(SALU_CYCLE_1)
	s_mov_b32 s1, exec_lo
	v_cmpx_eq_u32_e32 0, v131
	s_cbranch_execz .LBB4_147
; %bb.146:
	s_waitcnt lgkmcnt(1)
	v_lshrrev_b32_e32 v1, 2, v0
	s_delay_alu instid0(VALU_DEP_1)
	v_and_b32_e32 v1, 56, v1
	ds_store_b64 v1, v[3:4] offset:64
.LBB4_147:
	s_or_b32 exec_lo, exec_lo, s1
	s_delay_alu instid0(SALU_CYCLE_1)
	s_mov_b32 s1, exec_lo
	s_waitcnt lgkmcnt(0)
	s_barrier
	buffer_gl0_inv
	v_cmpx_gt_u32_e32 8, v0
	s_cbranch_execz .LBB4_155
; %bb.148:
	v_lshlrev_b32_e32 v1, 3, v131
	v_and_b32_e32 v5, 7, v131
	s_add_i32 s0, s0, 31
	s_mov_b32 s2, exec_lo
	s_lshr_b32 s0, s0, 5
	ds_load_b64 v[3:4], v1 offset:64
	v_cmp_ne_u32_e32 vcc_lo, 7, v5
	v_add_nc_u32_e32 v6, 1, v5
	v_add_co_ci_u32_e32 v1, vcc_lo, 0, v131, vcc_lo
	s_delay_alu instid0(VALU_DEP_1)
	v_lshlrev_b32_e32 v2, 2, v1
	s_waitcnt lgkmcnt(0)
	ds_bpermute_b32 v1, v2, v3
	ds_bpermute_b32 v2, v2, v4
	v_cmpx_gt_u32_e64 s0, v6
	s_cbranch_execz .LBB4_150
; %bb.149:
	s_waitcnt lgkmcnt(0)
	v_add_f64 v[3:4], v[3:4], v[1:2]
.LBB4_150:
	s_or_b32 exec_lo, exec_lo, s2
	v_cmp_gt_u32_e32 vcc_lo, 6, v5
	v_add_nc_u32_e32 v6, 2, v5
	s_mov_b32 s2, exec_lo
	s_waitcnt lgkmcnt(1)
	v_cndmask_b32_e64 v1, 0, 1, vcc_lo
	s_delay_alu instid0(VALU_DEP_1) | instskip(SKIP_1) | instid1(VALU_DEP_1)
	v_lshlrev_b32_e32 v1, 1, v1
	s_waitcnt lgkmcnt(0)
	v_add_lshl_u32 v2, v1, v131, 2
	ds_bpermute_b32 v1, v2, v3
	ds_bpermute_b32 v2, v2, v4
	v_cmpx_gt_u32_e64 s0, v6
	s_cbranch_execz .LBB4_152
; %bb.151:
	s_waitcnt lgkmcnt(0)
	v_add_f64 v[3:4], v[3:4], v[1:2]
.LBB4_152:
	s_or_b32 exec_lo, exec_lo, s2
	v_cmp_gt_u32_e32 vcc_lo, 4, v5
	v_add_nc_u32_e32 v5, 4, v5
	s_waitcnt lgkmcnt(1)
	v_cndmask_b32_e64 v1, 0, 1, vcc_lo
	s_delay_alu instid0(VALU_DEP_2) | instskip(NEXT) | instid1(VALU_DEP_2)
	v_cmp_gt_u32_e32 vcc_lo, s0, v5
	v_lshlrev_b32_e32 v1, 2, v1
	s_waitcnt lgkmcnt(0)
	s_delay_alu instid0(VALU_DEP_1)
	v_add_lshl_u32 v2, v1, v131, 2
	ds_bpermute_b32 v1, v2, v3
	ds_bpermute_b32 v2, v2, v4
	s_and_saveexec_b32 s0, vcc_lo
	s_cbranch_execz .LBB4_154
; %bb.153:
	s_waitcnt lgkmcnt(0)
	v_add_f64 v[3:4], v[3:4], v[1:2]
.LBB4_154:
	s_or_b32 exec_lo, exec_lo, s0
.LBB4_155:
	s_delay_alu instid0(SALU_CYCLE_1)
	s_or_b32 exec_lo, exec_lo, s1
.LBB4_156:
	s_delay_alu instid0(SALU_CYCLE_1)
	s_mov_b32 s0, exec_lo
	v_cmpx_eq_u32_e32 0, v0
	s_cbranch_execz .LBB4_158
; %bb.157:
	s_waitcnt lgkmcnt(1)
	s_delay_alu instid0(VALU_DEP_2)
	v_add_f64 v[0:1], v[3:4], s[70:71]
	s_lshl_b64 s[0:1], s[72:73], 3
	s_waitcnt lgkmcnt(0)
	v_mov_b32_e32 v2, 0
	s_add_u32 s0, s68, s0
	s_addc_u32 s1, s69, s1
	s_cmp_eq_u64 s[66:67], 0
	s_cselect_b32 s2, -1, 0
	s_delay_alu instid0(VALU_DEP_2) | instid1(SALU_CYCLE_1)
	v_cndmask_b32_e64 v1, v1, s71, s2
	s_delay_alu instid0(VALU_DEP_3)
	v_cndmask_b32_e64 v0, v0, s70, s2
	global_store_b64 v2, v[0:1], s[0:1]
.LBB4_158:
	s_nop 0
	s_sendmsg sendmsg(MSG_DEALLOC_VGPRS)
	s_endpgm
	.section	.rodata,"a",@progbits
	.p2align	6, 0x0
	.amdhsa_kernel _ZN7rocprim6detail19block_reduce_kernelILb1ELb1ELj16ENS0_21wrapped_reduce_configINS_14default_configEdEEdPdS5_dNS_4plusIdEEEEvT4_mT5_T6_T7_
		.amdhsa_group_segment_fixed_size 128
		.amdhsa_private_segment_fixed_size 0
		.amdhsa_kernarg_size 36
		.amdhsa_user_sgpr_count 15
		.amdhsa_user_sgpr_dispatch_ptr 0
		.amdhsa_user_sgpr_queue_ptr 0
		.amdhsa_user_sgpr_kernarg_segment_ptr 1
		.amdhsa_user_sgpr_dispatch_id 0
		.amdhsa_user_sgpr_private_segment_size 0
		.amdhsa_wavefront_size32 1
		.amdhsa_uses_dynamic_stack 0
		.amdhsa_enable_private_segment 0
		.amdhsa_system_sgpr_workgroup_id_x 1
		.amdhsa_system_sgpr_workgroup_id_y 0
		.amdhsa_system_sgpr_workgroup_id_z 0
		.amdhsa_system_sgpr_workgroup_info 0
		.amdhsa_system_vgpr_workitem_id 0
		.amdhsa_next_free_vgpr 132
		.amdhsa_next_free_sgpr 74
		.amdhsa_reserve_vcc 1
		.amdhsa_float_round_mode_32 0
		.amdhsa_float_round_mode_16_64 0
		.amdhsa_float_denorm_mode_32 3
		.amdhsa_float_denorm_mode_16_64 3
		.amdhsa_dx10_clamp 1
		.amdhsa_ieee_mode 1
		.amdhsa_fp16_overflow 0
		.amdhsa_workgroup_processor_mode 1
		.amdhsa_memory_ordered 1
		.amdhsa_forward_progress 0
		.amdhsa_shared_vgpr_count 0
		.amdhsa_exception_fp_ieee_invalid_op 0
		.amdhsa_exception_fp_denorm_src 0
		.amdhsa_exception_fp_ieee_div_zero 0
		.amdhsa_exception_fp_ieee_overflow 0
		.amdhsa_exception_fp_ieee_underflow 0
		.amdhsa_exception_fp_ieee_inexact 0
		.amdhsa_exception_int_div_zero 0
	.end_amdhsa_kernel
	.section	.text._ZN7rocprim6detail19block_reduce_kernelILb1ELb1ELj16ENS0_21wrapped_reduce_configINS_14default_configEdEEdPdS5_dNS_4plusIdEEEEvT4_mT5_T6_T7_,"axG",@progbits,_ZN7rocprim6detail19block_reduce_kernelILb1ELb1ELj16ENS0_21wrapped_reduce_configINS_14default_configEdEEdPdS5_dNS_4plusIdEEEEvT4_mT5_T6_T7_,comdat
.Lfunc_end4:
	.size	_ZN7rocprim6detail19block_reduce_kernelILb1ELb1ELj16ENS0_21wrapped_reduce_configINS_14default_configEdEEdPdS5_dNS_4plusIdEEEEvT4_mT5_T6_T7_, .Lfunc_end4-_ZN7rocprim6detail19block_reduce_kernelILb1ELb1ELj16ENS0_21wrapped_reduce_configINS_14default_configEdEEdPdS5_dNS_4plusIdEEEEvT4_mT5_T6_T7_
                                        ; -- End function
	.section	.AMDGPU.csdata,"",@progbits
; Kernel info:
; codeLenInByte = 9332
; NumSgprs: 76
; NumVgprs: 132
; ScratchSize: 0
; MemoryBound: 0
; FloatMode: 240
; IeeeMode: 1
; LDSByteSize: 128 bytes/workgroup (compile time only)
; SGPRBlocks: 9
; VGPRBlocks: 16
; NumSGPRsForWavesPerEU: 76
; NumVGPRsForWavesPerEU: 132
; Occupancy: 10
; WaveLimiterHint : 1
; COMPUTE_PGM_RSRC2:SCRATCH_EN: 0
; COMPUTE_PGM_RSRC2:USER_SGPR: 15
; COMPUTE_PGM_RSRC2:TRAP_HANDLER: 0
; COMPUTE_PGM_RSRC2:TGID_X_EN: 1
; COMPUTE_PGM_RSRC2:TGID_Y_EN: 0
; COMPUTE_PGM_RSRC2:TGID_Z_EN: 0
; COMPUTE_PGM_RSRC2:TIDIG_COMP_CNT: 0
	.section	.text._ZN7rocprim6detail19block_reduce_kernelILb1ELb0ELj16ENS0_21wrapped_reduce_configINS_14default_configEdEEdPdS5_dNS_4plusIdEEEEvT4_mT5_T6_T7_,"axG",@progbits,_ZN7rocprim6detail19block_reduce_kernelILb1ELb0ELj16ENS0_21wrapped_reduce_configINS_14default_configEdEEdPdS5_dNS_4plusIdEEEEvT4_mT5_T6_T7_,comdat
	.protected	_ZN7rocprim6detail19block_reduce_kernelILb1ELb0ELj16ENS0_21wrapped_reduce_configINS_14default_configEdEEdPdS5_dNS_4plusIdEEEEvT4_mT5_T6_T7_ ; -- Begin function _ZN7rocprim6detail19block_reduce_kernelILb1ELb0ELj16ENS0_21wrapped_reduce_configINS_14default_configEdEEdPdS5_dNS_4plusIdEEEEvT4_mT5_T6_T7_
	.globl	_ZN7rocprim6detail19block_reduce_kernelILb1ELb0ELj16ENS0_21wrapped_reduce_configINS_14default_configEdEEdPdS5_dNS_4plusIdEEEEvT4_mT5_T6_T7_
	.p2align	8
	.type	_ZN7rocprim6detail19block_reduce_kernelILb1ELb0ELj16ENS0_21wrapped_reduce_configINS_14default_configEdEEdPdS5_dNS_4plusIdEEEEvT4_mT5_T6_T7_,@function
_ZN7rocprim6detail19block_reduce_kernelILb1ELb0ELj16ENS0_21wrapped_reduce_configINS_14default_configEdEEdPdS5_dNS_4plusIdEEEEvT4_mT5_T6_T7_: ; @_ZN7rocprim6detail19block_reduce_kernelILb1ELb0ELj16ENS0_21wrapped_reduce_configINS_14default_configEdEEdPdS5_dNS_4plusIdEEEEvT4_mT5_T6_T7_
; %bb.0:
	s_load_b256 s[0:7], s[0:1], 0x0
	s_mov_b32 s11, 0
	v_mbcnt_lo_u32_b32 v5, -1, 0
	s_mov_b32 s8, s15
	s_mov_b32 s9, s11
	s_lshl_b32 s10, s15, 8
	s_waitcnt lgkmcnt(0)
	s_lshr_b64 s[12:13], s[2:3], 8
	s_delay_alu instid0(SALU_CYCLE_1)
	s_cmp_lg_u64 s[12:13], s[8:9]
	s_cbranch_scc0 .LBB5_6
; %bb.1:
	s_lshl_b64 s[12:13], s[10:11], 3
	v_lshlrev_b32_e32 v1, 3, v0
	s_add_u32 s12, s0, s12
	s_addc_u32 s13, s1, s13
	global_load_b64 v[1:2], v1, s[12:13]
	s_mov_b32 s12, exec_lo
	s_waitcnt vmcnt(0)
	v_mov_b32_dpp v3, v1 quad_perm:[1,0,3,2] row_mask:0xf bank_mask:0xf
	v_mov_b32_dpp v4, v2 quad_perm:[1,0,3,2] row_mask:0xf bank_mask:0xf
	s_delay_alu instid0(VALU_DEP_1) | instskip(NEXT) | instid1(VALU_DEP_1)
	v_add_f64 v[1:2], v[1:2], v[3:4]
	v_mov_b32_dpp v3, v1 quad_perm:[2,3,0,1] row_mask:0xf bank_mask:0xf
	s_delay_alu instid0(VALU_DEP_2) | instskip(NEXT) | instid1(VALU_DEP_1)
	v_mov_b32_dpp v4, v2 quad_perm:[2,3,0,1] row_mask:0xf bank_mask:0xf
	v_add_f64 v[1:2], v[1:2], v[3:4]
	s_delay_alu instid0(VALU_DEP_1) | instskip(NEXT) | instid1(VALU_DEP_2)
	v_mov_b32_dpp v3, v1 row_ror:4 row_mask:0xf bank_mask:0xf
	v_mov_b32_dpp v4, v2 row_ror:4 row_mask:0xf bank_mask:0xf
	s_delay_alu instid0(VALU_DEP_1) | instskip(NEXT) | instid1(VALU_DEP_1)
	v_add_f64 v[1:2], v[1:2], v[3:4]
	v_mov_b32_dpp v3, v1 row_ror:8 row_mask:0xf bank_mask:0xf
	s_delay_alu instid0(VALU_DEP_2) | instskip(NEXT) | instid1(VALU_DEP_1)
	v_mov_b32_dpp v4, v2 row_ror:8 row_mask:0xf bank_mask:0xf
	v_add_f64 v[1:2], v[1:2], v[3:4]
	ds_swizzle_b32 v3, v1 offset:swizzle(BROADCAST,32,15)
	ds_swizzle_b32 v4, v2 offset:swizzle(BROADCAST,32,15)
	s_waitcnt lgkmcnt(0)
	v_add_f64 v[1:2], v[1:2], v[3:4]
	v_mov_b32_e32 v3, 0
	ds_bpermute_b32 v1, v3, v1 offset:124
	ds_bpermute_b32 v2, v3, v2 offset:124
	v_cmpx_eq_u32_e32 0, v5
	s_cbranch_execz .LBB5_3
; %bb.2:
	v_lshrrev_b32_e32 v3, 2, v0
	s_delay_alu instid0(VALU_DEP_1)
	v_and_b32_e32 v3, 56, v3
	s_waitcnt lgkmcnt(0)
	ds_store_b64 v3, v[1:2]
.LBB5_3:
	s_or_b32 exec_lo, exec_lo, s12
	s_delay_alu instid0(SALU_CYCLE_1)
	s_mov_b32 s12, exec_lo
	s_waitcnt lgkmcnt(0)
	s_barrier
	buffer_gl0_inv
	v_cmpx_gt_u32_e32 32, v0
	s_cbranch_execz .LBB5_5
; %bb.4:
	v_and_b32_e32 v6, 7, v5
	s_delay_alu instid0(VALU_DEP_1) | instskip(SKIP_4) | instid1(VALU_DEP_2)
	v_lshlrev_b32_e32 v1, 3, v6
	v_cmp_ne_u32_e32 vcc_lo, 7, v6
	ds_load_b64 v[1:2], v1
	v_add_co_ci_u32_e32 v3, vcc_lo, 0, v5, vcc_lo
	v_cmp_gt_u32_e32 vcc_lo, 6, v6
	v_lshlrev_b32_e32 v4, 2, v3
	s_waitcnt lgkmcnt(0)
	ds_bpermute_b32 v3, v4, v1
	ds_bpermute_b32 v4, v4, v2
	s_waitcnt lgkmcnt(0)
	v_add_f64 v[1:2], v[1:2], v[3:4]
	v_cndmask_b32_e64 v3, 0, 1, vcc_lo
	v_cmp_gt_u32_e32 vcc_lo, 4, v6
	s_delay_alu instid0(VALU_DEP_2) | instskip(NEXT) | instid1(VALU_DEP_1)
	v_lshlrev_b32_e32 v3, 1, v3
	v_add_lshl_u32 v4, v3, v5, 2
	ds_bpermute_b32 v3, v4, v1
	ds_bpermute_b32 v4, v4, v2
	s_waitcnt lgkmcnt(0)
	v_add_f64 v[1:2], v[1:2], v[3:4]
	v_cndmask_b32_e64 v3, 0, 1, vcc_lo
	s_delay_alu instid0(VALU_DEP_1) | instskip(NEXT) | instid1(VALU_DEP_1)
	v_lshlrev_b32_e32 v3, 2, v3
	v_add_lshl_u32 v4, v3, v5, 2
	ds_bpermute_b32 v3, v4, v1
	ds_bpermute_b32 v4, v4, v2
	s_waitcnt lgkmcnt(0)
	v_add_f64 v[1:2], v[1:2], v[3:4]
.LBB5_5:
	s_or_b32 exec_lo, exec_lo, s12
	s_branch .LBB5_30
.LBB5_6:
                                        ; implicit-def: $vgpr1_vgpr2
	s_cbranch_execz .LBB5_30
; %bb.7:
	s_sub_i32 s12, s2, s10
	s_mov_b32 s13, exec_lo
                                        ; implicit-def: $vgpr1_vgpr2
	v_cmpx_gt_u32_e64 s12, v0
	s_cbranch_execz .LBB5_9
; %bb.8:
	s_lshl_b64 s[10:11], s[10:11], 3
	v_lshlrev_b32_e32 v1, 3, v0
	s_add_u32 s0, s0, s10
	s_addc_u32 s1, s1, s11
	global_load_b64 v[1:2], v1, s[0:1]
.LBB5_9:
	s_or_b32 exec_lo, exec_lo, s13
	v_cmp_ne_u32_e32 vcc_lo, 31, v5
	v_and_b32_e32 v6, 0xe0, v0
	s_min_u32 s0, s12, 0x100
	v_add_nc_u32_e32 v7, 1, v5
	s_mov_b32 s1, exec_lo
	v_add_co_ci_u32_e32 v3, vcc_lo, 0, v5, vcc_lo
	v_sub_nc_u32_e64 v6, s0, v6 clamp
	s_delay_alu instid0(VALU_DEP_2)
	v_lshlrev_b32_e32 v4, 2, v3
	s_waitcnt vmcnt(0)
	ds_bpermute_b32 v3, v4, v1
	ds_bpermute_b32 v4, v4, v2
	v_cmpx_lt_u32_e64 v7, v6
	s_cbranch_execz .LBB5_11
; %bb.10:
	s_waitcnt lgkmcnt(0)
	v_add_f64 v[1:2], v[1:2], v[3:4]
.LBB5_11:
	s_or_b32 exec_lo, exec_lo, s1
	v_cmp_gt_u32_e32 vcc_lo, 30, v5
	v_add_nc_u32_e32 v7, 2, v5
	s_mov_b32 s1, exec_lo
	s_waitcnt lgkmcnt(1)
	v_cndmask_b32_e64 v3, 0, 1, vcc_lo
	s_delay_alu instid0(VALU_DEP_1) | instskip(SKIP_1) | instid1(VALU_DEP_1)
	v_lshlrev_b32_e32 v3, 1, v3
	s_waitcnt lgkmcnt(0)
	v_add_lshl_u32 v4, v3, v5, 2
	ds_bpermute_b32 v3, v4, v1
	ds_bpermute_b32 v4, v4, v2
	v_cmpx_lt_u32_e64 v7, v6
	s_cbranch_execz .LBB5_13
; %bb.12:
	s_waitcnt lgkmcnt(0)
	v_add_f64 v[1:2], v[1:2], v[3:4]
.LBB5_13:
	s_or_b32 exec_lo, exec_lo, s1
	v_cmp_gt_u32_e32 vcc_lo, 28, v5
	v_add_nc_u32_e32 v7, 4, v5
	s_mov_b32 s1, exec_lo
	s_waitcnt lgkmcnt(1)
	v_cndmask_b32_e64 v3, 0, 1, vcc_lo
	s_delay_alu instid0(VALU_DEP_1) | instskip(SKIP_1) | instid1(VALU_DEP_1)
	v_lshlrev_b32_e32 v3, 2, v3
	s_waitcnt lgkmcnt(0)
	v_add_lshl_u32 v4, v3, v5, 2
	;; [unrolled: 18-line block ×4, first 2 shown]
	ds_bpermute_b32 v3, v4, v1
	ds_bpermute_b32 v4, v4, v2
	v_cmpx_lt_u32_e64 v7, v6
	s_cbranch_execz .LBB5_19
; %bb.18:
	s_waitcnt lgkmcnt(0)
	v_add_f64 v[1:2], v[1:2], v[3:4]
.LBB5_19:
	s_or_b32 exec_lo, exec_lo, s1
	s_delay_alu instid0(SALU_CYCLE_1)
	s_mov_b32 s1, exec_lo
	v_cmpx_eq_u32_e32 0, v5
	s_cbranch_execz .LBB5_21
; %bb.20:
	s_waitcnt lgkmcnt(1)
	v_lshrrev_b32_e32 v3, 2, v0
	s_delay_alu instid0(VALU_DEP_1)
	v_and_b32_e32 v3, 56, v3
	ds_store_b64 v3, v[1:2] offset:64
.LBB5_21:
	s_or_b32 exec_lo, exec_lo, s1
	s_delay_alu instid0(SALU_CYCLE_1)
	s_mov_b32 s1, exec_lo
	s_waitcnt lgkmcnt(0)
	s_barrier
	buffer_gl0_inv
	v_cmpx_gt_u32_e32 8, v0
	s_cbranch_execz .LBB5_29
; %bb.22:
	v_lshlrev_b32_e32 v1, 3, v5
	v_and_b32_e32 v6, 7, v5
	s_add_i32 s0, s0, 31
	s_mov_b32 s10, exec_lo
	s_lshr_b32 s0, s0, 5
	ds_load_b64 v[1:2], v1 offset:64
	v_cmp_ne_u32_e32 vcc_lo, 7, v6
	v_add_nc_u32_e32 v7, 1, v6
	v_add_co_ci_u32_e32 v3, vcc_lo, 0, v5, vcc_lo
	s_delay_alu instid0(VALU_DEP_1)
	v_lshlrev_b32_e32 v4, 2, v3
	s_waitcnt lgkmcnt(0)
	ds_bpermute_b32 v3, v4, v1
	ds_bpermute_b32 v4, v4, v2
	v_cmpx_gt_u32_e64 s0, v7
	s_cbranch_execz .LBB5_24
; %bb.23:
	s_waitcnt lgkmcnt(0)
	v_add_f64 v[1:2], v[1:2], v[3:4]
.LBB5_24:
	s_or_b32 exec_lo, exec_lo, s10
	v_cmp_gt_u32_e32 vcc_lo, 6, v6
	v_add_nc_u32_e32 v7, 2, v6
	s_mov_b32 s10, exec_lo
	s_waitcnt lgkmcnt(1)
	v_cndmask_b32_e64 v3, 0, 1, vcc_lo
	s_delay_alu instid0(VALU_DEP_1) | instskip(SKIP_1) | instid1(VALU_DEP_1)
	v_lshlrev_b32_e32 v3, 1, v3
	s_waitcnt lgkmcnt(0)
	v_add_lshl_u32 v4, v3, v5, 2
	ds_bpermute_b32 v3, v4, v1
	ds_bpermute_b32 v4, v4, v2
	v_cmpx_gt_u32_e64 s0, v7
	s_cbranch_execz .LBB5_26
; %bb.25:
	s_waitcnt lgkmcnt(0)
	v_add_f64 v[1:2], v[1:2], v[3:4]
.LBB5_26:
	s_or_b32 exec_lo, exec_lo, s10
	v_cmp_gt_u32_e32 vcc_lo, 4, v6
	s_waitcnt lgkmcnt(1)
	v_cndmask_b32_e64 v3, 0, 1, vcc_lo
	s_delay_alu instid0(VALU_DEP_1) | instskip(SKIP_1) | instid1(VALU_DEP_1)
	v_lshlrev_b32_e32 v3, 2, v3
	s_waitcnt lgkmcnt(0)
	v_add_lshl_u32 v4, v3, v5, 2
	v_add_nc_u32_e32 v5, 4, v6
	ds_bpermute_b32 v3, v4, v1
	ds_bpermute_b32 v4, v4, v2
	v_cmp_gt_u32_e32 vcc_lo, s0, v5
	s_and_saveexec_b32 s0, vcc_lo
	s_cbranch_execz .LBB5_28
; %bb.27:
	s_waitcnt lgkmcnt(0)
	v_add_f64 v[1:2], v[1:2], v[3:4]
.LBB5_28:
	s_or_b32 exec_lo, exec_lo, s0
.LBB5_29:
	s_delay_alu instid0(SALU_CYCLE_1)
	s_or_b32 exec_lo, exec_lo, s1
.LBB5_30:
	s_delay_alu instid0(SALU_CYCLE_1)
	s_mov_b32 s0, exec_lo
	v_cmpx_eq_u32_e32 0, v0
	s_cbranch_execz .LBB5_32
; %bb.31:
	s_delay_alu instid0(VALU_DEP_2)
	v_add_f64 v[0:1], v[1:2], s[6:7]
	s_lshl_b64 s[0:1], s[8:9], 3
	v_mov_b32_e32 v2, 0
	s_add_u32 s0, s4, s0
	s_addc_u32 s1, s5, s1
	s_cmp_eq_u64 s[2:3], 0
	s_cselect_b32 s2, -1, 0
	s_delay_alu instid0(VALU_DEP_2) | instid1(SALU_CYCLE_1)
	v_cndmask_b32_e64 v1, v1, s7, s2
	s_delay_alu instid0(VALU_DEP_3)
	v_cndmask_b32_e64 v0, v0, s6, s2
	global_store_b64 v2, v[0:1], s[0:1]
.LBB5_32:
	s_nop 0
	s_sendmsg sendmsg(MSG_DEALLOC_VGPRS)
	s_endpgm
	.section	.rodata,"a",@progbits
	.p2align	6, 0x0
	.amdhsa_kernel _ZN7rocprim6detail19block_reduce_kernelILb1ELb0ELj16ENS0_21wrapped_reduce_configINS_14default_configEdEEdPdS5_dNS_4plusIdEEEEvT4_mT5_T6_T7_
		.amdhsa_group_segment_fixed_size 128
		.amdhsa_private_segment_fixed_size 0
		.amdhsa_kernarg_size 36
		.amdhsa_user_sgpr_count 15
		.amdhsa_user_sgpr_dispatch_ptr 0
		.amdhsa_user_sgpr_queue_ptr 0
		.amdhsa_user_sgpr_kernarg_segment_ptr 1
		.amdhsa_user_sgpr_dispatch_id 0
		.amdhsa_user_sgpr_private_segment_size 0
		.amdhsa_wavefront_size32 1
		.amdhsa_uses_dynamic_stack 0
		.amdhsa_enable_private_segment 0
		.amdhsa_system_sgpr_workgroup_id_x 1
		.amdhsa_system_sgpr_workgroup_id_y 0
		.amdhsa_system_sgpr_workgroup_id_z 0
		.amdhsa_system_sgpr_workgroup_info 0
		.amdhsa_system_vgpr_workitem_id 0
		.amdhsa_next_free_vgpr 8
		.amdhsa_next_free_sgpr 16
		.amdhsa_reserve_vcc 1
		.amdhsa_float_round_mode_32 0
		.amdhsa_float_round_mode_16_64 0
		.amdhsa_float_denorm_mode_32 3
		.amdhsa_float_denorm_mode_16_64 3
		.amdhsa_dx10_clamp 1
		.amdhsa_ieee_mode 1
		.amdhsa_fp16_overflow 0
		.amdhsa_workgroup_processor_mode 1
		.amdhsa_memory_ordered 1
		.amdhsa_forward_progress 0
		.amdhsa_shared_vgpr_count 0
		.amdhsa_exception_fp_ieee_invalid_op 0
		.amdhsa_exception_fp_denorm_src 0
		.amdhsa_exception_fp_ieee_div_zero 0
		.amdhsa_exception_fp_ieee_overflow 0
		.amdhsa_exception_fp_ieee_underflow 0
		.amdhsa_exception_fp_ieee_inexact 0
		.amdhsa_exception_int_div_zero 0
	.end_amdhsa_kernel
	.section	.text._ZN7rocprim6detail19block_reduce_kernelILb1ELb0ELj16ENS0_21wrapped_reduce_configINS_14default_configEdEEdPdS5_dNS_4plusIdEEEEvT4_mT5_T6_T7_,"axG",@progbits,_ZN7rocprim6detail19block_reduce_kernelILb1ELb0ELj16ENS0_21wrapped_reduce_configINS_14default_configEdEEdPdS5_dNS_4plusIdEEEEvT4_mT5_T6_T7_,comdat
.Lfunc_end5:
	.size	_ZN7rocprim6detail19block_reduce_kernelILb1ELb0ELj16ENS0_21wrapped_reduce_configINS_14default_configEdEEdPdS5_dNS_4plusIdEEEEvT4_mT5_T6_T7_, .Lfunc_end5-_ZN7rocprim6detail19block_reduce_kernelILb1ELb0ELj16ENS0_21wrapped_reduce_configINS_14default_configEdEEdPdS5_dNS_4plusIdEEEEvT4_mT5_T6_T7_
                                        ; -- End function
	.section	.AMDGPU.csdata,"",@progbits
; Kernel info:
; codeLenInByte = 1448
; NumSgprs: 18
; NumVgprs: 8
; ScratchSize: 0
; MemoryBound: 0
; FloatMode: 240
; IeeeMode: 1
; LDSByteSize: 128 bytes/workgroup (compile time only)
; SGPRBlocks: 2
; VGPRBlocks: 0
; NumSGPRsForWavesPerEU: 18
; NumVGPRsForWavesPerEU: 8
; Occupancy: 16
; WaveLimiterHint : 0
; COMPUTE_PGM_RSRC2:SCRATCH_EN: 0
; COMPUTE_PGM_RSRC2:USER_SGPR: 15
; COMPUTE_PGM_RSRC2:TRAP_HANDLER: 0
; COMPUTE_PGM_RSRC2:TGID_X_EN: 1
; COMPUTE_PGM_RSRC2:TGID_Y_EN: 0
; COMPUTE_PGM_RSRC2:TGID_Z_EN: 0
; COMPUTE_PGM_RSRC2:TIDIG_COMP_CNT: 0
	.section	.text._ZN7rocprim6detail19block_reduce_kernelILb1ELb0ELj8ENS0_21wrapped_reduce_configINS_14default_configEdEEdPdS5_dNS_4plusIdEEEEvT4_mT5_T6_T7_,"axG",@progbits,_ZN7rocprim6detail19block_reduce_kernelILb1ELb0ELj8ENS0_21wrapped_reduce_configINS_14default_configEdEEdPdS5_dNS_4plusIdEEEEvT4_mT5_T6_T7_,comdat
	.protected	_ZN7rocprim6detail19block_reduce_kernelILb1ELb0ELj8ENS0_21wrapped_reduce_configINS_14default_configEdEEdPdS5_dNS_4plusIdEEEEvT4_mT5_T6_T7_ ; -- Begin function _ZN7rocprim6detail19block_reduce_kernelILb1ELb0ELj8ENS0_21wrapped_reduce_configINS_14default_configEdEEdPdS5_dNS_4plusIdEEEEvT4_mT5_T6_T7_
	.globl	_ZN7rocprim6detail19block_reduce_kernelILb1ELb0ELj8ENS0_21wrapped_reduce_configINS_14default_configEdEEdPdS5_dNS_4plusIdEEEEvT4_mT5_T6_T7_
	.p2align	8
	.type	_ZN7rocprim6detail19block_reduce_kernelILb1ELb0ELj8ENS0_21wrapped_reduce_configINS_14default_configEdEEdPdS5_dNS_4plusIdEEEEvT4_mT5_T6_T7_,@function
_ZN7rocprim6detail19block_reduce_kernelILb1ELb0ELj8ENS0_21wrapped_reduce_configINS_14default_configEdEEdPdS5_dNS_4plusIdEEEEvT4_mT5_T6_T7_: ; @_ZN7rocprim6detail19block_reduce_kernelILb1ELb0ELj8ENS0_21wrapped_reduce_configINS_14default_configEdEEdPdS5_dNS_4plusIdEEEEvT4_mT5_T6_T7_
; %bb.0:
	s_load_b256 s[0:7], s[0:1], 0x0
	s_mov_b32 s11, 0
	v_mbcnt_lo_u32_b32 v5, -1, 0
	s_mov_b32 s8, s15
	s_mov_b32 s9, s11
	s_lshl_b32 s10, s15, 8
	s_waitcnt lgkmcnt(0)
	s_lshr_b64 s[12:13], s[2:3], 8
	s_delay_alu instid0(SALU_CYCLE_1)
	s_cmp_lg_u64 s[12:13], s[8:9]
	s_cbranch_scc0 .LBB6_6
; %bb.1:
	s_lshl_b64 s[12:13], s[10:11], 3
	v_lshlrev_b32_e32 v1, 3, v0
	s_add_u32 s12, s0, s12
	s_addc_u32 s13, s1, s13
	global_load_b64 v[1:2], v1, s[12:13]
	s_mov_b32 s12, exec_lo
	s_waitcnt vmcnt(0)
	v_mov_b32_dpp v3, v1 quad_perm:[1,0,3,2] row_mask:0xf bank_mask:0xf
	v_mov_b32_dpp v4, v2 quad_perm:[1,0,3,2] row_mask:0xf bank_mask:0xf
	s_delay_alu instid0(VALU_DEP_1) | instskip(NEXT) | instid1(VALU_DEP_1)
	v_add_f64 v[1:2], v[1:2], v[3:4]
	v_mov_b32_dpp v3, v1 quad_perm:[2,3,0,1] row_mask:0xf bank_mask:0xf
	s_delay_alu instid0(VALU_DEP_2) | instskip(NEXT) | instid1(VALU_DEP_1)
	v_mov_b32_dpp v4, v2 quad_perm:[2,3,0,1] row_mask:0xf bank_mask:0xf
	v_add_f64 v[1:2], v[1:2], v[3:4]
	s_delay_alu instid0(VALU_DEP_1) | instskip(NEXT) | instid1(VALU_DEP_2)
	v_mov_b32_dpp v3, v1 row_ror:4 row_mask:0xf bank_mask:0xf
	v_mov_b32_dpp v4, v2 row_ror:4 row_mask:0xf bank_mask:0xf
	s_delay_alu instid0(VALU_DEP_1) | instskip(NEXT) | instid1(VALU_DEP_1)
	v_add_f64 v[1:2], v[1:2], v[3:4]
	v_mov_b32_dpp v3, v1 row_ror:8 row_mask:0xf bank_mask:0xf
	s_delay_alu instid0(VALU_DEP_2) | instskip(NEXT) | instid1(VALU_DEP_1)
	v_mov_b32_dpp v4, v2 row_ror:8 row_mask:0xf bank_mask:0xf
	v_add_f64 v[1:2], v[1:2], v[3:4]
	ds_swizzle_b32 v3, v1 offset:swizzle(BROADCAST,32,15)
	ds_swizzle_b32 v4, v2 offset:swizzle(BROADCAST,32,15)
	s_waitcnt lgkmcnt(0)
	v_add_f64 v[1:2], v[1:2], v[3:4]
	v_mov_b32_e32 v3, 0
	ds_bpermute_b32 v1, v3, v1 offset:124
	ds_bpermute_b32 v2, v3, v2 offset:124
	v_cmpx_eq_u32_e32 0, v5
	s_cbranch_execz .LBB6_3
; %bb.2:
	v_lshrrev_b32_e32 v3, 2, v0
	s_delay_alu instid0(VALU_DEP_1)
	v_and_b32_e32 v3, 56, v3
	s_waitcnt lgkmcnt(0)
	ds_store_b64 v3, v[1:2]
.LBB6_3:
	s_or_b32 exec_lo, exec_lo, s12
	s_delay_alu instid0(SALU_CYCLE_1)
	s_mov_b32 s12, exec_lo
	s_waitcnt lgkmcnt(0)
	s_barrier
	buffer_gl0_inv
	v_cmpx_gt_u32_e32 32, v0
	s_cbranch_execz .LBB6_5
; %bb.4:
	v_and_b32_e32 v6, 7, v5
	s_delay_alu instid0(VALU_DEP_1) | instskip(SKIP_4) | instid1(VALU_DEP_2)
	v_lshlrev_b32_e32 v1, 3, v6
	v_cmp_ne_u32_e32 vcc_lo, 7, v6
	ds_load_b64 v[1:2], v1
	v_add_co_ci_u32_e32 v3, vcc_lo, 0, v5, vcc_lo
	v_cmp_gt_u32_e32 vcc_lo, 6, v6
	v_lshlrev_b32_e32 v4, 2, v3
	s_waitcnt lgkmcnt(0)
	ds_bpermute_b32 v3, v4, v1
	ds_bpermute_b32 v4, v4, v2
	s_waitcnt lgkmcnt(0)
	v_add_f64 v[1:2], v[1:2], v[3:4]
	v_cndmask_b32_e64 v3, 0, 1, vcc_lo
	v_cmp_gt_u32_e32 vcc_lo, 4, v6
	s_delay_alu instid0(VALU_DEP_2) | instskip(NEXT) | instid1(VALU_DEP_1)
	v_lshlrev_b32_e32 v3, 1, v3
	v_add_lshl_u32 v4, v3, v5, 2
	ds_bpermute_b32 v3, v4, v1
	ds_bpermute_b32 v4, v4, v2
	s_waitcnt lgkmcnt(0)
	v_add_f64 v[1:2], v[1:2], v[3:4]
	v_cndmask_b32_e64 v3, 0, 1, vcc_lo
	s_delay_alu instid0(VALU_DEP_1) | instskip(NEXT) | instid1(VALU_DEP_1)
	v_lshlrev_b32_e32 v3, 2, v3
	v_add_lshl_u32 v4, v3, v5, 2
	ds_bpermute_b32 v3, v4, v1
	ds_bpermute_b32 v4, v4, v2
	s_waitcnt lgkmcnt(0)
	v_add_f64 v[1:2], v[1:2], v[3:4]
.LBB6_5:
	s_or_b32 exec_lo, exec_lo, s12
	s_branch .LBB6_30
.LBB6_6:
                                        ; implicit-def: $vgpr1_vgpr2
	s_cbranch_execz .LBB6_30
; %bb.7:
	s_sub_i32 s12, s2, s10
	s_mov_b32 s13, exec_lo
                                        ; implicit-def: $vgpr1_vgpr2
	v_cmpx_gt_u32_e64 s12, v0
	s_cbranch_execz .LBB6_9
; %bb.8:
	s_lshl_b64 s[10:11], s[10:11], 3
	v_lshlrev_b32_e32 v1, 3, v0
	s_add_u32 s0, s0, s10
	s_addc_u32 s1, s1, s11
	global_load_b64 v[1:2], v1, s[0:1]
.LBB6_9:
	s_or_b32 exec_lo, exec_lo, s13
	v_cmp_ne_u32_e32 vcc_lo, 31, v5
	v_and_b32_e32 v6, 0xe0, v0
	s_min_u32 s0, s12, 0x100
	v_add_nc_u32_e32 v7, 1, v5
	s_mov_b32 s1, exec_lo
	v_add_co_ci_u32_e32 v3, vcc_lo, 0, v5, vcc_lo
	v_sub_nc_u32_e64 v6, s0, v6 clamp
	s_delay_alu instid0(VALU_DEP_2)
	v_lshlrev_b32_e32 v4, 2, v3
	s_waitcnt vmcnt(0)
	ds_bpermute_b32 v3, v4, v1
	ds_bpermute_b32 v4, v4, v2
	v_cmpx_lt_u32_e64 v7, v6
	s_cbranch_execz .LBB6_11
; %bb.10:
	s_waitcnt lgkmcnt(0)
	v_add_f64 v[1:2], v[1:2], v[3:4]
.LBB6_11:
	s_or_b32 exec_lo, exec_lo, s1
	v_cmp_gt_u32_e32 vcc_lo, 30, v5
	v_add_nc_u32_e32 v7, 2, v5
	s_mov_b32 s1, exec_lo
	s_waitcnt lgkmcnt(1)
	v_cndmask_b32_e64 v3, 0, 1, vcc_lo
	s_delay_alu instid0(VALU_DEP_1) | instskip(SKIP_1) | instid1(VALU_DEP_1)
	v_lshlrev_b32_e32 v3, 1, v3
	s_waitcnt lgkmcnt(0)
	v_add_lshl_u32 v4, v3, v5, 2
	ds_bpermute_b32 v3, v4, v1
	ds_bpermute_b32 v4, v4, v2
	v_cmpx_lt_u32_e64 v7, v6
	s_cbranch_execz .LBB6_13
; %bb.12:
	s_waitcnt lgkmcnt(0)
	v_add_f64 v[1:2], v[1:2], v[3:4]
.LBB6_13:
	s_or_b32 exec_lo, exec_lo, s1
	v_cmp_gt_u32_e32 vcc_lo, 28, v5
	v_add_nc_u32_e32 v7, 4, v5
	s_mov_b32 s1, exec_lo
	s_waitcnt lgkmcnt(1)
	v_cndmask_b32_e64 v3, 0, 1, vcc_lo
	s_delay_alu instid0(VALU_DEP_1) | instskip(SKIP_1) | instid1(VALU_DEP_1)
	v_lshlrev_b32_e32 v3, 2, v3
	s_waitcnt lgkmcnt(0)
	v_add_lshl_u32 v4, v3, v5, 2
	;; [unrolled: 18-line block ×4, first 2 shown]
	ds_bpermute_b32 v3, v4, v1
	ds_bpermute_b32 v4, v4, v2
	v_cmpx_lt_u32_e64 v7, v6
	s_cbranch_execz .LBB6_19
; %bb.18:
	s_waitcnt lgkmcnt(0)
	v_add_f64 v[1:2], v[1:2], v[3:4]
.LBB6_19:
	s_or_b32 exec_lo, exec_lo, s1
	s_delay_alu instid0(SALU_CYCLE_1)
	s_mov_b32 s1, exec_lo
	v_cmpx_eq_u32_e32 0, v5
	s_cbranch_execz .LBB6_21
; %bb.20:
	s_waitcnt lgkmcnt(1)
	v_lshrrev_b32_e32 v3, 2, v0
	s_delay_alu instid0(VALU_DEP_1)
	v_and_b32_e32 v3, 56, v3
	ds_store_b64 v3, v[1:2] offset:64
.LBB6_21:
	s_or_b32 exec_lo, exec_lo, s1
	s_delay_alu instid0(SALU_CYCLE_1)
	s_mov_b32 s1, exec_lo
	s_waitcnt lgkmcnt(0)
	s_barrier
	buffer_gl0_inv
	v_cmpx_gt_u32_e32 8, v0
	s_cbranch_execz .LBB6_29
; %bb.22:
	v_lshlrev_b32_e32 v1, 3, v5
	v_and_b32_e32 v6, 7, v5
	s_add_i32 s0, s0, 31
	s_mov_b32 s10, exec_lo
	s_lshr_b32 s0, s0, 5
	ds_load_b64 v[1:2], v1 offset:64
	v_cmp_ne_u32_e32 vcc_lo, 7, v6
	v_add_nc_u32_e32 v7, 1, v6
	v_add_co_ci_u32_e32 v3, vcc_lo, 0, v5, vcc_lo
	s_delay_alu instid0(VALU_DEP_1)
	v_lshlrev_b32_e32 v4, 2, v3
	s_waitcnt lgkmcnt(0)
	ds_bpermute_b32 v3, v4, v1
	ds_bpermute_b32 v4, v4, v2
	v_cmpx_gt_u32_e64 s0, v7
	s_cbranch_execz .LBB6_24
; %bb.23:
	s_waitcnt lgkmcnt(0)
	v_add_f64 v[1:2], v[1:2], v[3:4]
.LBB6_24:
	s_or_b32 exec_lo, exec_lo, s10
	v_cmp_gt_u32_e32 vcc_lo, 6, v6
	v_add_nc_u32_e32 v7, 2, v6
	s_mov_b32 s10, exec_lo
	s_waitcnt lgkmcnt(1)
	v_cndmask_b32_e64 v3, 0, 1, vcc_lo
	s_delay_alu instid0(VALU_DEP_1) | instskip(SKIP_1) | instid1(VALU_DEP_1)
	v_lshlrev_b32_e32 v3, 1, v3
	s_waitcnt lgkmcnt(0)
	v_add_lshl_u32 v4, v3, v5, 2
	ds_bpermute_b32 v3, v4, v1
	ds_bpermute_b32 v4, v4, v2
	v_cmpx_gt_u32_e64 s0, v7
	s_cbranch_execz .LBB6_26
; %bb.25:
	s_waitcnt lgkmcnt(0)
	v_add_f64 v[1:2], v[1:2], v[3:4]
.LBB6_26:
	s_or_b32 exec_lo, exec_lo, s10
	v_cmp_gt_u32_e32 vcc_lo, 4, v6
	s_waitcnt lgkmcnt(1)
	v_cndmask_b32_e64 v3, 0, 1, vcc_lo
	s_delay_alu instid0(VALU_DEP_1) | instskip(SKIP_1) | instid1(VALU_DEP_1)
	v_lshlrev_b32_e32 v3, 2, v3
	s_waitcnt lgkmcnt(0)
	v_add_lshl_u32 v4, v3, v5, 2
	v_add_nc_u32_e32 v5, 4, v6
	ds_bpermute_b32 v3, v4, v1
	ds_bpermute_b32 v4, v4, v2
	v_cmp_gt_u32_e32 vcc_lo, s0, v5
	s_and_saveexec_b32 s0, vcc_lo
	s_cbranch_execz .LBB6_28
; %bb.27:
	s_waitcnt lgkmcnt(0)
	v_add_f64 v[1:2], v[1:2], v[3:4]
.LBB6_28:
	s_or_b32 exec_lo, exec_lo, s0
.LBB6_29:
	s_delay_alu instid0(SALU_CYCLE_1)
	s_or_b32 exec_lo, exec_lo, s1
.LBB6_30:
	s_delay_alu instid0(SALU_CYCLE_1)
	s_mov_b32 s0, exec_lo
	v_cmpx_eq_u32_e32 0, v0
	s_cbranch_execz .LBB6_32
; %bb.31:
	s_delay_alu instid0(VALU_DEP_2)
	v_add_f64 v[0:1], v[1:2], s[6:7]
	s_lshl_b64 s[0:1], s[8:9], 3
	v_mov_b32_e32 v2, 0
	s_add_u32 s0, s4, s0
	s_addc_u32 s1, s5, s1
	s_cmp_eq_u64 s[2:3], 0
	s_cselect_b32 s2, -1, 0
	s_delay_alu instid0(VALU_DEP_2) | instid1(SALU_CYCLE_1)
	v_cndmask_b32_e64 v1, v1, s7, s2
	s_delay_alu instid0(VALU_DEP_3)
	v_cndmask_b32_e64 v0, v0, s6, s2
	global_store_b64 v2, v[0:1], s[0:1]
.LBB6_32:
	s_nop 0
	s_sendmsg sendmsg(MSG_DEALLOC_VGPRS)
	s_endpgm
	.section	.rodata,"a",@progbits
	.p2align	6, 0x0
	.amdhsa_kernel _ZN7rocprim6detail19block_reduce_kernelILb1ELb0ELj8ENS0_21wrapped_reduce_configINS_14default_configEdEEdPdS5_dNS_4plusIdEEEEvT4_mT5_T6_T7_
		.amdhsa_group_segment_fixed_size 128
		.amdhsa_private_segment_fixed_size 0
		.amdhsa_kernarg_size 36
		.amdhsa_user_sgpr_count 15
		.amdhsa_user_sgpr_dispatch_ptr 0
		.amdhsa_user_sgpr_queue_ptr 0
		.amdhsa_user_sgpr_kernarg_segment_ptr 1
		.amdhsa_user_sgpr_dispatch_id 0
		.amdhsa_user_sgpr_private_segment_size 0
		.amdhsa_wavefront_size32 1
		.amdhsa_uses_dynamic_stack 0
		.amdhsa_enable_private_segment 0
		.amdhsa_system_sgpr_workgroup_id_x 1
		.amdhsa_system_sgpr_workgroup_id_y 0
		.amdhsa_system_sgpr_workgroup_id_z 0
		.amdhsa_system_sgpr_workgroup_info 0
		.amdhsa_system_vgpr_workitem_id 0
		.amdhsa_next_free_vgpr 8
		.amdhsa_next_free_sgpr 16
		.amdhsa_reserve_vcc 1
		.amdhsa_float_round_mode_32 0
		.amdhsa_float_round_mode_16_64 0
		.amdhsa_float_denorm_mode_32 3
		.amdhsa_float_denorm_mode_16_64 3
		.amdhsa_dx10_clamp 1
		.amdhsa_ieee_mode 1
		.amdhsa_fp16_overflow 0
		.amdhsa_workgroup_processor_mode 1
		.amdhsa_memory_ordered 1
		.amdhsa_forward_progress 0
		.amdhsa_shared_vgpr_count 0
		.amdhsa_exception_fp_ieee_invalid_op 0
		.amdhsa_exception_fp_denorm_src 0
		.amdhsa_exception_fp_ieee_div_zero 0
		.amdhsa_exception_fp_ieee_overflow 0
		.amdhsa_exception_fp_ieee_underflow 0
		.amdhsa_exception_fp_ieee_inexact 0
		.amdhsa_exception_int_div_zero 0
	.end_amdhsa_kernel
	.section	.text._ZN7rocprim6detail19block_reduce_kernelILb1ELb0ELj8ENS0_21wrapped_reduce_configINS_14default_configEdEEdPdS5_dNS_4plusIdEEEEvT4_mT5_T6_T7_,"axG",@progbits,_ZN7rocprim6detail19block_reduce_kernelILb1ELb0ELj8ENS0_21wrapped_reduce_configINS_14default_configEdEEdPdS5_dNS_4plusIdEEEEvT4_mT5_T6_T7_,comdat
.Lfunc_end6:
	.size	_ZN7rocprim6detail19block_reduce_kernelILb1ELb0ELj8ENS0_21wrapped_reduce_configINS_14default_configEdEEdPdS5_dNS_4plusIdEEEEvT4_mT5_T6_T7_, .Lfunc_end6-_ZN7rocprim6detail19block_reduce_kernelILb1ELb0ELj8ENS0_21wrapped_reduce_configINS_14default_configEdEEdPdS5_dNS_4plusIdEEEEvT4_mT5_T6_T7_
                                        ; -- End function
	.section	.AMDGPU.csdata,"",@progbits
; Kernel info:
; codeLenInByte = 1448
; NumSgprs: 18
; NumVgprs: 8
; ScratchSize: 0
; MemoryBound: 0
; FloatMode: 240
; IeeeMode: 1
; LDSByteSize: 128 bytes/workgroup (compile time only)
; SGPRBlocks: 2
; VGPRBlocks: 0
; NumSGPRsForWavesPerEU: 18
; NumVGPRsForWavesPerEU: 8
; Occupancy: 16
; WaveLimiterHint : 0
; COMPUTE_PGM_RSRC2:SCRATCH_EN: 0
; COMPUTE_PGM_RSRC2:USER_SGPR: 15
; COMPUTE_PGM_RSRC2:TRAP_HANDLER: 0
; COMPUTE_PGM_RSRC2:TGID_X_EN: 1
; COMPUTE_PGM_RSRC2:TGID_Y_EN: 0
; COMPUTE_PGM_RSRC2:TGID_Z_EN: 0
; COMPUTE_PGM_RSRC2:TIDIG_COMP_CNT: 0
	.section	.text._ZN7rocprim6detail19block_reduce_kernelILb1ELb0ELj4ENS0_21wrapped_reduce_configINS_14default_configEdEEdPdS5_dNS_4plusIdEEEEvT4_mT5_T6_T7_,"axG",@progbits,_ZN7rocprim6detail19block_reduce_kernelILb1ELb0ELj4ENS0_21wrapped_reduce_configINS_14default_configEdEEdPdS5_dNS_4plusIdEEEEvT4_mT5_T6_T7_,comdat
	.protected	_ZN7rocprim6detail19block_reduce_kernelILb1ELb0ELj4ENS0_21wrapped_reduce_configINS_14default_configEdEEdPdS5_dNS_4plusIdEEEEvT4_mT5_T6_T7_ ; -- Begin function _ZN7rocprim6detail19block_reduce_kernelILb1ELb0ELj4ENS0_21wrapped_reduce_configINS_14default_configEdEEdPdS5_dNS_4plusIdEEEEvT4_mT5_T6_T7_
	.globl	_ZN7rocprim6detail19block_reduce_kernelILb1ELb0ELj4ENS0_21wrapped_reduce_configINS_14default_configEdEEdPdS5_dNS_4plusIdEEEEvT4_mT5_T6_T7_
	.p2align	8
	.type	_ZN7rocprim6detail19block_reduce_kernelILb1ELb0ELj4ENS0_21wrapped_reduce_configINS_14default_configEdEEdPdS5_dNS_4plusIdEEEEvT4_mT5_T6_T7_,@function
_ZN7rocprim6detail19block_reduce_kernelILb1ELb0ELj4ENS0_21wrapped_reduce_configINS_14default_configEdEEdPdS5_dNS_4plusIdEEEEvT4_mT5_T6_T7_: ; @_ZN7rocprim6detail19block_reduce_kernelILb1ELb0ELj4ENS0_21wrapped_reduce_configINS_14default_configEdEEdPdS5_dNS_4plusIdEEEEvT4_mT5_T6_T7_
; %bb.0:
	s_load_b256 s[0:7], s[0:1], 0x0
	s_mov_b32 s11, 0
	v_mbcnt_lo_u32_b32 v5, -1, 0
	s_mov_b32 s8, s15
	s_mov_b32 s9, s11
	s_lshl_b32 s10, s15, 8
	s_waitcnt lgkmcnt(0)
	s_lshr_b64 s[12:13], s[2:3], 8
	s_delay_alu instid0(SALU_CYCLE_1)
	s_cmp_lg_u64 s[12:13], s[8:9]
	s_cbranch_scc0 .LBB7_6
; %bb.1:
	s_lshl_b64 s[12:13], s[10:11], 3
	v_lshlrev_b32_e32 v1, 3, v0
	s_add_u32 s12, s0, s12
	s_addc_u32 s13, s1, s13
	global_load_b64 v[1:2], v1, s[12:13]
	s_mov_b32 s12, exec_lo
	s_waitcnt vmcnt(0)
	v_mov_b32_dpp v3, v1 quad_perm:[1,0,3,2] row_mask:0xf bank_mask:0xf
	v_mov_b32_dpp v4, v2 quad_perm:[1,0,3,2] row_mask:0xf bank_mask:0xf
	s_delay_alu instid0(VALU_DEP_1) | instskip(NEXT) | instid1(VALU_DEP_1)
	v_add_f64 v[1:2], v[1:2], v[3:4]
	v_mov_b32_dpp v3, v1 quad_perm:[2,3,0,1] row_mask:0xf bank_mask:0xf
	s_delay_alu instid0(VALU_DEP_2) | instskip(NEXT) | instid1(VALU_DEP_1)
	v_mov_b32_dpp v4, v2 quad_perm:[2,3,0,1] row_mask:0xf bank_mask:0xf
	v_add_f64 v[1:2], v[1:2], v[3:4]
	s_delay_alu instid0(VALU_DEP_1) | instskip(NEXT) | instid1(VALU_DEP_2)
	v_mov_b32_dpp v3, v1 row_ror:4 row_mask:0xf bank_mask:0xf
	v_mov_b32_dpp v4, v2 row_ror:4 row_mask:0xf bank_mask:0xf
	s_delay_alu instid0(VALU_DEP_1) | instskip(NEXT) | instid1(VALU_DEP_1)
	v_add_f64 v[1:2], v[1:2], v[3:4]
	v_mov_b32_dpp v3, v1 row_ror:8 row_mask:0xf bank_mask:0xf
	s_delay_alu instid0(VALU_DEP_2) | instskip(NEXT) | instid1(VALU_DEP_1)
	v_mov_b32_dpp v4, v2 row_ror:8 row_mask:0xf bank_mask:0xf
	v_add_f64 v[1:2], v[1:2], v[3:4]
	ds_swizzle_b32 v3, v1 offset:swizzle(BROADCAST,32,15)
	ds_swizzle_b32 v4, v2 offset:swizzle(BROADCAST,32,15)
	s_waitcnt lgkmcnt(0)
	v_add_f64 v[1:2], v[1:2], v[3:4]
	v_mov_b32_e32 v3, 0
	ds_bpermute_b32 v1, v3, v1 offset:124
	ds_bpermute_b32 v2, v3, v2 offset:124
	v_cmpx_eq_u32_e32 0, v5
	s_cbranch_execz .LBB7_3
; %bb.2:
	v_lshrrev_b32_e32 v3, 2, v0
	s_delay_alu instid0(VALU_DEP_1)
	v_and_b32_e32 v3, 56, v3
	s_waitcnt lgkmcnt(0)
	ds_store_b64 v3, v[1:2]
.LBB7_3:
	s_or_b32 exec_lo, exec_lo, s12
	s_delay_alu instid0(SALU_CYCLE_1)
	s_mov_b32 s12, exec_lo
	s_waitcnt lgkmcnt(0)
	s_barrier
	buffer_gl0_inv
	v_cmpx_gt_u32_e32 32, v0
	s_cbranch_execz .LBB7_5
; %bb.4:
	v_and_b32_e32 v6, 7, v5
	s_delay_alu instid0(VALU_DEP_1) | instskip(SKIP_4) | instid1(VALU_DEP_2)
	v_lshlrev_b32_e32 v1, 3, v6
	v_cmp_ne_u32_e32 vcc_lo, 7, v6
	ds_load_b64 v[1:2], v1
	v_add_co_ci_u32_e32 v3, vcc_lo, 0, v5, vcc_lo
	v_cmp_gt_u32_e32 vcc_lo, 6, v6
	v_lshlrev_b32_e32 v4, 2, v3
	s_waitcnt lgkmcnt(0)
	ds_bpermute_b32 v3, v4, v1
	ds_bpermute_b32 v4, v4, v2
	s_waitcnt lgkmcnt(0)
	v_add_f64 v[1:2], v[1:2], v[3:4]
	v_cndmask_b32_e64 v3, 0, 1, vcc_lo
	v_cmp_gt_u32_e32 vcc_lo, 4, v6
	s_delay_alu instid0(VALU_DEP_2) | instskip(NEXT) | instid1(VALU_DEP_1)
	v_lshlrev_b32_e32 v3, 1, v3
	v_add_lshl_u32 v4, v3, v5, 2
	ds_bpermute_b32 v3, v4, v1
	ds_bpermute_b32 v4, v4, v2
	s_waitcnt lgkmcnt(0)
	v_add_f64 v[1:2], v[1:2], v[3:4]
	v_cndmask_b32_e64 v3, 0, 1, vcc_lo
	s_delay_alu instid0(VALU_DEP_1) | instskip(NEXT) | instid1(VALU_DEP_1)
	v_lshlrev_b32_e32 v3, 2, v3
	v_add_lshl_u32 v4, v3, v5, 2
	ds_bpermute_b32 v3, v4, v1
	ds_bpermute_b32 v4, v4, v2
	s_waitcnt lgkmcnt(0)
	v_add_f64 v[1:2], v[1:2], v[3:4]
.LBB7_5:
	s_or_b32 exec_lo, exec_lo, s12
	s_branch .LBB7_30
.LBB7_6:
                                        ; implicit-def: $vgpr1_vgpr2
	s_cbranch_execz .LBB7_30
; %bb.7:
	s_sub_i32 s12, s2, s10
	s_mov_b32 s13, exec_lo
                                        ; implicit-def: $vgpr1_vgpr2
	v_cmpx_gt_u32_e64 s12, v0
	s_cbranch_execz .LBB7_9
; %bb.8:
	s_lshl_b64 s[10:11], s[10:11], 3
	v_lshlrev_b32_e32 v1, 3, v0
	s_add_u32 s0, s0, s10
	s_addc_u32 s1, s1, s11
	global_load_b64 v[1:2], v1, s[0:1]
.LBB7_9:
	s_or_b32 exec_lo, exec_lo, s13
	v_cmp_ne_u32_e32 vcc_lo, 31, v5
	v_and_b32_e32 v6, 0xe0, v0
	s_min_u32 s0, s12, 0x100
	v_add_nc_u32_e32 v7, 1, v5
	s_mov_b32 s1, exec_lo
	v_add_co_ci_u32_e32 v3, vcc_lo, 0, v5, vcc_lo
	v_sub_nc_u32_e64 v6, s0, v6 clamp
	s_delay_alu instid0(VALU_DEP_2)
	v_lshlrev_b32_e32 v4, 2, v3
	s_waitcnt vmcnt(0)
	ds_bpermute_b32 v3, v4, v1
	ds_bpermute_b32 v4, v4, v2
	v_cmpx_lt_u32_e64 v7, v6
	s_cbranch_execz .LBB7_11
; %bb.10:
	s_waitcnt lgkmcnt(0)
	v_add_f64 v[1:2], v[1:2], v[3:4]
.LBB7_11:
	s_or_b32 exec_lo, exec_lo, s1
	v_cmp_gt_u32_e32 vcc_lo, 30, v5
	v_add_nc_u32_e32 v7, 2, v5
	s_mov_b32 s1, exec_lo
	s_waitcnt lgkmcnt(1)
	v_cndmask_b32_e64 v3, 0, 1, vcc_lo
	s_delay_alu instid0(VALU_DEP_1) | instskip(SKIP_1) | instid1(VALU_DEP_1)
	v_lshlrev_b32_e32 v3, 1, v3
	s_waitcnt lgkmcnt(0)
	v_add_lshl_u32 v4, v3, v5, 2
	ds_bpermute_b32 v3, v4, v1
	ds_bpermute_b32 v4, v4, v2
	v_cmpx_lt_u32_e64 v7, v6
	s_cbranch_execz .LBB7_13
; %bb.12:
	s_waitcnt lgkmcnt(0)
	v_add_f64 v[1:2], v[1:2], v[3:4]
.LBB7_13:
	s_or_b32 exec_lo, exec_lo, s1
	v_cmp_gt_u32_e32 vcc_lo, 28, v5
	v_add_nc_u32_e32 v7, 4, v5
	s_mov_b32 s1, exec_lo
	s_waitcnt lgkmcnt(1)
	v_cndmask_b32_e64 v3, 0, 1, vcc_lo
	s_delay_alu instid0(VALU_DEP_1) | instskip(SKIP_1) | instid1(VALU_DEP_1)
	v_lshlrev_b32_e32 v3, 2, v3
	s_waitcnt lgkmcnt(0)
	v_add_lshl_u32 v4, v3, v5, 2
	ds_bpermute_b32 v3, v4, v1
	ds_bpermute_b32 v4, v4, v2
	v_cmpx_lt_u32_e64 v7, v6
	s_cbranch_execz .LBB7_15
; %bb.14:
	s_waitcnt lgkmcnt(0)
	v_add_f64 v[1:2], v[1:2], v[3:4]
.LBB7_15:
	s_or_b32 exec_lo, exec_lo, s1
	v_cmp_gt_u32_e32 vcc_lo, 24, v5
	v_add_nc_u32_e32 v7, 8, v5
	s_mov_b32 s1, exec_lo
	s_waitcnt lgkmcnt(1)
	v_cndmask_b32_e64 v3, 0, 1, vcc_lo
	s_delay_alu instid0(VALU_DEP_1) | instskip(SKIP_1) | instid1(VALU_DEP_1)
	v_lshlrev_b32_e32 v3, 3, v3
	s_waitcnt lgkmcnt(0)
	v_add_lshl_u32 v4, v3, v5, 2
	ds_bpermute_b32 v3, v4, v1
	ds_bpermute_b32 v4, v4, v2
	v_cmpx_lt_u32_e64 v7, v6
	s_cbranch_execz .LBB7_17
; %bb.16:
	s_waitcnt lgkmcnt(0)
	v_add_f64 v[1:2], v[1:2], v[3:4]
.LBB7_17:
	s_or_b32 exec_lo, exec_lo, s1
	v_cmp_gt_u32_e32 vcc_lo, 16, v5
	v_add_nc_u32_e32 v7, 16, v5
	s_mov_b32 s1, exec_lo
	s_waitcnt lgkmcnt(1)
	v_cndmask_b32_e64 v3, 0, 1, vcc_lo
	s_delay_alu instid0(VALU_DEP_1) | instskip(SKIP_1) | instid1(VALU_DEP_1)
	v_lshlrev_b32_e32 v3, 4, v3
	s_waitcnt lgkmcnt(0)
	v_add_lshl_u32 v4, v3, v5, 2
	ds_bpermute_b32 v3, v4, v1
	ds_bpermute_b32 v4, v4, v2
	v_cmpx_lt_u32_e64 v7, v6
	s_cbranch_execz .LBB7_19
; %bb.18:
	s_waitcnt lgkmcnt(0)
	v_add_f64 v[1:2], v[1:2], v[3:4]
.LBB7_19:
	s_or_b32 exec_lo, exec_lo, s1
	s_delay_alu instid0(SALU_CYCLE_1)
	s_mov_b32 s1, exec_lo
	v_cmpx_eq_u32_e32 0, v5
	s_cbranch_execz .LBB7_21
; %bb.20:
	s_waitcnt lgkmcnt(1)
	v_lshrrev_b32_e32 v3, 2, v0
	s_delay_alu instid0(VALU_DEP_1)
	v_and_b32_e32 v3, 56, v3
	ds_store_b64 v3, v[1:2] offset:64
.LBB7_21:
	s_or_b32 exec_lo, exec_lo, s1
	s_delay_alu instid0(SALU_CYCLE_1)
	s_mov_b32 s1, exec_lo
	s_waitcnt lgkmcnt(0)
	s_barrier
	buffer_gl0_inv
	v_cmpx_gt_u32_e32 8, v0
	s_cbranch_execz .LBB7_29
; %bb.22:
	v_lshlrev_b32_e32 v1, 3, v5
	v_and_b32_e32 v6, 7, v5
	s_add_i32 s0, s0, 31
	s_mov_b32 s10, exec_lo
	s_lshr_b32 s0, s0, 5
	ds_load_b64 v[1:2], v1 offset:64
	v_cmp_ne_u32_e32 vcc_lo, 7, v6
	v_add_nc_u32_e32 v7, 1, v6
	v_add_co_ci_u32_e32 v3, vcc_lo, 0, v5, vcc_lo
	s_delay_alu instid0(VALU_DEP_1)
	v_lshlrev_b32_e32 v4, 2, v3
	s_waitcnt lgkmcnt(0)
	ds_bpermute_b32 v3, v4, v1
	ds_bpermute_b32 v4, v4, v2
	v_cmpx_gt_u32_e64 s0, v7
	s_cbranch_execz .LBB7_24
; %bb.23:
	s_waitcnt lgkmcnt(0)
	v_add_f64 v[1:2], v[1:2], v[3:4]
.LBB7_24:
	s_or_b32 exec_lo, exec_lo, s10
	v_cmp_gt_u32_e32 vcc_lo, 6, v6
	v_add_nc_u32_e32 v7, 2, v6
	s_mov_b32 s10, exec_lo
	s_waitcnt lgkmcnt(1)
	v_cndmask_b32_e64 v3, 0, 1, vcc_lo
	s_delay_alu instid0(VALU_DEP_1) | instskip(SKIP_1) | instid1(VALU_DEP_1)
	v_lshlrev_b32_e32 v3, 1, v3
	s_waitcnt lgkmcnt(0)
	v_add_lshl_u32 v4, v3, v5, 2
	ds_bpermute_b32 v3, v4, v1
	ds_bpermute_b32 v4, v4, v2
	v_cmpx_gt_u32_e64 s0, v7
	s_cbranch_execz .LBB7_26
; %bb.25:
	s_waitcnt lgkmcnt(0)
	v_add_f64 v[1:2], v[1:2], v[3:4]
.LBB7_26:
	s_or_b32 exec_lo, exec_lo, s10
	v_cmp_gt_u32_e32 vcc_lo, 4, v6
	s_waitcnt lgkmcnt(1)
	v_cndmask_b32_e64 v3, 0, 1, vcc_lo
	s_delay_alu instid0(VALU_DEP_1) | instskip(SKIP_1) | instid1(VALU_DEP_1)
	v_lshlrev_b32_e32 v3, 2, v3
	s_waitcnt lgkmcnt(0)
	v_add_lshl_u32 v4, v3, v5, 2
	v_add_nc_u32_e32 v5, 4, v6
	ds_bpermute_b32 v3, v4, v1
	ds_bpermute_b32 v4, v4, v2
	v_cmp_gt_u32_e32 vcc_lo, s0, v5
	s_and_saveexec_b32 s0, vcc_lo
	s_cbranch_execz .LBB7_28
; %bb.27:
	s_waitcnt lgkmcnt(0)
	v_add_f64 v[1:2], v[1:2], v[3:4]
.LBB7_28:
	s_or_b32 exec_lo, exec_lo, s0
.LBB7_29:
	s_delay_alu instid0(SALU_CYCLE_1)
	s_or_b32 exec_lo, exec_lo, s1
.LBB7_30:
	s_delay_alu instid0(SALU_CYCLE_1)
	s_mov_b32 s0, exec_lo
	v_cmpx_eq_u32_e32 0, v0
	s_cbranch_execz .LBB7_32
; %bb.31:
	s_delay_alu instid0(VALU_DEP_2)
	v_add_f64 v[0:1], v[1:2], s[6:7]
	s_lshl_b64 s[0:1], s[8:9], 3
	v_mov_b32_e32 v2, 0
	s_add_u32 s0, s4, s0
	s_addc_u32 s1, s5, s1
	s_cmp_eq_u64 s[2:3], 0
	s_cselect_b32 s2, -1, 0
	s_delay_alu instid0(VALU_DEP_2) | instid1(SALU_CYCLE_1)
	v_cndmask_b32_e64 v1, v1, s7, s2
	s_delay_alu instid0(VALU_DEP_3)
	v_cndmask_b32_e64 v0, v0, s6, s2
	global_store_b64 v2, v[0:1], s[0:1]
.LBB7_32:
	s_nop 0
	s_sendmsg sendmsg(MSG_DEALLOC_VGPRS)
	s_endpgm
	.section	.rodata,"a",@progbits
	.p2align	6, 0x0
	.amdhsa_kernel _ZN7rocprim6detail19block_reduce_kernelILb1ELb0ELj4ENS0_21wrapped_reduce_configINS_14default_configEdEEdPdS5_dNS_4plusIdEEEEvT4_mT5_T6_T7_
		.amdhsa_group_segment_fixed_size 128
		.amdhsa_private_segment_fixed_size 0
		.amdhsa_kernarg_size 36
		.amdhsa_user_sgpr_count 15
		.amdhsa_user_sgpr_dispatch_ptr 0
		.amdhsa_user_sgpr_queue_ptr 0
		.amdhsa_user_sgpr_kernarg_segment_ptr 1
		.amdhsa_user_sgpr_dispatch_id 0
		.amdhsa_user_sgpr_private_segment_size 0
		.amdhsa_wavefront_size32 1
		.amdhsa_uses_dynamic_stack 0
		.amdhsa_enable_private_segment 0
		.amdhsa_system_sgpr_workgroup_id_x 1
		.amdhsa_system_sgpr_workgroup_id_y 0
		.amdhsa_system_sgpr_workgroup_id_z 0
		.amdhsa_system_sgpr_workgroup_info 0
		.amdhsa_system_vgpr_workitem_id 0
		.amdhsa_next_free_vgpr 8
		.amdhsa_next_free_sgpr 16
		.amdhsa_reserve_vcc 1
		.amdhsa_float_round_mode_32 0
		.amdhsa_float_round_mode_16_64 0
		.amdhsa_float_denorm_mode_32 3
		.amdhsa_float_denorm_mode_16_64 3
		.amdhsa_dx10_clamp 1
		.amdhsa_ieee_mode 1
		.amdhsa_fp16_overflow 0
		.amdhsa_workgroup_processor_mode 1
		.amdhsa_memory_ordered 1
		.amdhsa_forward_progress 0
		.amdhsa_shared_vgpr_count 0
		.amdhsa_exception_fp_ieee_invalid_op 0
		.amdhsa_exception_fp_denorm_src 0
		.amdhsa_exception_fp_ieee_div_zero 0
		.amdhsa_exception_fp_ieee_overflow 0
		.amdhsa_exception_fp_ieee_underflow 0
		.amdhsa_exception_fp_ieee_inexact 0
		.amdhsa_exception_int_div_zero 0
	.end_amdhsa_kernel
	.section	.text._ZN7rocprim6detail19block_reduce_kernelILb1ELb0ELj4ENS0_21wrapped_reduce_configINS_14default_configEdEEdPdS5_dNS_4plusIdEEEEvT4_mT5_T6_T7_,"axG",@progbits,_ZN7rocprim6detail19block_reduce_kernelILb1ELb0ELj4ENS0_21wrapped_reduce_configINS_14default_configEdEEdPdS5_dNS_4plusIdEEEEvT4_mT5_T6_T7_,comdat
.Lfunc_end7:
	.size	_ZN7rocprim6detail19block_reduce_kernelILb1ELb0ELj4ENS0_21wrapped_reduce_configINS_14default_configEdEEdPdS5_dNS_4plusIdEEEEvT4_mT5_T6_T7_, .Lfunc_end7-_ZN7rocprim6detail19block_reduce_kernelILb1ELb0ELj4ENS0_21wrapped_reduce_configINS_14default_configEdEEdPdS5_dNS_4plusIdEEEEvT4_mT5_T6_T7_
                                        ; -- End function
	.section	.AMDGPU.csdata,"",@progbits
; Kernel info:
; codeLenInByte = 1448
; NumSgprs: 18
; NumVgprs: 8
; ScratchSize: 0
; MemoryBound: 0
; FloatMode: 240
; IeeeMode: 1
; LDSByteSize: 128 bytes/workgroup (compile time only)
; SGPRBlocks: 2
; VGPRBlocks: 0
; NumSGPRsForWavesPerEU: 18
; NumVGPRsForWavesPerEU: 8
; Occupancy: 16
; WaveLimiterHint : 0
; COMPUTE_PGM_RSRC2:SCRATCH_EN: 0
; COMPUTE_PGM_RSRC2:USER_SGPR: 15
; COMPUTE_PGM_RSRC2:TRAP_HANDLER: 0
; COMPUTE_PGM_RSRC2:TGID_X_EN: 1
; COMPUTE_PGM_RSRC2:TGID_Y_EN: 0
; COMPUTE_PGM_RSRC2:TGID_Z_EN: 0
; COMPUTE_PGM_RSRC2:TIDIG_COMP_CNT: 0
	.section	.text._ZN7rocprim6detail19block_reduce_kernelILb1ELb0ELj2ENS0_21wrapped_reduce_configINS_14default_configEdEEdPdS5_dNS_4plusIdEEEEvT4_mT5_T6_T7_,"axG",@progbits,_ZN7rocprim6detail19block_reduce_kernelILb1ELb0ELj2ENS0_21wrapped_reduce_configINS_14default_configEdEEdPdS5_dNS_4plusIdEEEEvT4_mT5_T6_T7_,comdat
	.protected	_ZN7rocprim6detail19block_reduce_kernelILb1ELb0ELj2ENS0_21wrapped_reduce_configINS_14default_configEdEEdPdS5_dNS_4plusIdEEEEvT4_mT5_T6_T7_ ; -- Begin function _ZN7rocprim6detail19block_reduce_kernelILb1ELb0ELj2ENS0_21wrapped_reduce_configINS_14default_configEdEEdPdS5_dNS_4plusIdEEEEvT4_mT5_T6_T7_
	.globl	_ZN7rocprim6detail19block_reduce_kernelILb1ELb0ELj2ENS0_21wrapped_reduce_configINS_14default_configEdEEdPdS5_dNS_4plusIdEEEEvT4_mT5_T6_T7_
	.p2align	8
	.type	_ZN7rocprim6detail19block_reduce_kernelILb1ELb0ELj2ENS0_21wrapped_reduce_configINS_14default_configEdEEdPdS5_dNS_4plusIdEEEEvT4_mT5_T6_T7_,@function
_ZN7rocprim6detail19block_reduce_kernelILb1ELb0ELj2ENS0_21wrapped_reduce_configINS_14default_configEdEEdPdS5_dNS_4plusIdEEEEvT4_mT5_T6_T7_: ; @_ZN7rocprim6detail19block_reduce_kernelILb1ELb0ELj2ENS0_21wrapped_reduce_configINS_14default_configEdEEdPdS5_dNS_4plusIdEEEEvT4_mT5_T6_T7_
; %bb.0:
	s_load_b256 s[0:7], s[0:1], 0x0
	s_mov_b32 s11, 0
	s_lshl_b32 s10, s15, 9
	v_lshlrev_b32_e32 v1, 3, v0
	s_lshl_b64 s[12:13], s[10:11], 3
	s_mov_b32 s8, s15
	v_mbcnt_lo_u32_b32 v7, -1, 0
	s_mov_b32 s9, s11
	s_waitcnt lgkmcnt(0)
	s_lshr_b64 s[14:15], s[2:3], 9
	s_add_u32 s0, s0, s12
	s_addc_u32 s1, s1, s13
	v_add_co_u32 v5, s0, s0, v1
	s_delay_alu instid0(VALU_DEP_1)
	v_add_co_ci_u32_e64 v6, null, s1, 0, s0
	s_cmp_lg_u64 s[14:15], s[8:9]
	s_cbranch_scc0 .LBB8_6
; %bb.1:
	s_clause 0x1
	global_load_b64 v[1:2], v[5:6], off
	global_load_b64 v[3:4], v[5:6], off offset:2048
	s_mov_b32 s0, exec_lo
	s_waitcnt vmcnt(0)
	v_add_f64 v[1:2], v[1:2], v[3:4]
	s_delay_alu instid0(VALU_DEP_1) | instskip(NEXT) | instid1(VALU_DEP_2)
	v_mov_b32_dpp v3, v1 quad_perm:[1,0,3,2] row_mask:0xf bank_mask:0xf
	v_mov_b32_dpp v4, v2 quad_perm:[1,0,3,2] row_mask:0xf bank_mask:0xf
	s_delay_alu instid0(VALU_DEP_1) | instskip(NEXT) | instid1(VALU_DEP_1)
	v_add_f64 v[1:2], v[1:2], v[3:4]
	v_mov_b32_dpp v3, v1 quad_perm:[2,3,0,1] row_mask:0xf bank_mask:0xf
	s_delay_alu instid0(VALU_DEP_2) | instskip(NEXT) | instid1(VALU_DEP_1)
	v_mov_b32_dpp v4, v2 quad_perm:[2,3,0,1] row_mask:0xf bank_mask:0xf
	v_add_f64 v[1:2], v[1:2], v[3:4]
	s_delay_alu instid0(VALU_DEP_1) | instskip(NEXT) | instid1(VALU_DEP_2)
	v_mov_b32_dpp v3, v1 row_ror:4 row_mask:0xf bank_mask:0xf
	v_mov_b32_dpp v4, v2 row_ror:4 row_mask:0xf bank_mask:0xf
	s_delay_alu instid0(VALU_DEP_1) | instskip(NEXT) | instid1(VALU_DEP_1)
	v_add_f64 v[1:2], v[1:2], v[3:4]
	v_mov_b32_dpp v3, v1 row_ror:8 row_mask:0xf bank_mask:0xf
	s_delay_alu instid0(VALU_DEP_2) | instskip(NEXT) | instid1(VALU_DEP_1)
	v_mov_b32_dpp v4, v2 row_ror:8 row_mask:0xf bank_mask:0xf
	v_add_f64 v[1:2], v[1:2], v[3:4]
	ds_swizzle_b32 v3, v1 offset:swizzle(BROADCAST,32,15)
	ds_swizzle_b32 v4, v2 offset:swizzle(BROADCAST,32,15)
	s_waitcnt lgkmcnt(0)
	v_add_f64 v[1:2], v[1:2], v[3:4]
	v_mov_b32_e32 v3, 0
	ds_bpermute_b32 v1, v3, v1 offset:124
	ds_bpermute_b32 v2, v3, v2 offset:124
	v_cmpx_eq_u32_e32 0, v7
	s_cbranch_execz .LBB8_3
; %bb.2:
	v_lshrrev_b32_e32 v3, 2, v0
	s_delay_alu instid0(VALU_DEP_1)
	v_and_b32_e32 v3, 56, v3
	s_waitcnt lgkmcnt(0)
	ds_store_b64 v3, v[1:2]
.LBB8_3:
	s_or_b32 exec_lo, exec_lo, s0
	s_delay_alu instid0(SALU_CYCLE_1)
	s_mov_b32 s0, exec_lo
	s_waitcnt lgkmcnt(0)
	s_barrier
	buffer_gl0_inv
	v_cmpx_gt_u32_e32 32, v0
	s_cbranch_execz .LBB8_5
; %bb.4:
	v_and_b32_e32 v8, 7, v7
	s_delay_alu instid0(VALU_DEP_1) | instskip(SKIP_4) | instid1(VALU_DEP_2)
	v_lshlrev_b32_e32 v1, 3, v8
	v_cmp_ne_u32_e32 vcc_lo, 7, v8
	ds_load_b64 v[1:2], v1
	v_add_co_ci_u32_e32 v3, vcc_lo, 0, v7, vcc_lo
	v_cmp_gt_u32_e32 vcc_lo, 6, v8
	v_lshlrev_b32_e32 v4, 2, v3
	s_waitcnt lgkmcnt(0)
	ds_bpermute_b32 v3, v4, v1
	ds_bpermute_b32 v4, v4, v2
	s_waitcnt lgkmcnt(0)
	v_add_f64 v[1:2], v[1:2], v[3:4]
	v_cndmask_b32_e64 v3, 0, 1, vcc_lo
	v_cmp_gt_u32_e32 vcc_lo, 4, v8
	s_delay_alu instid0(VALU_DEP_2) | instskip(NEXT) | instid1(VALU_DEP_1)
	v_lshlrev_b32_e32 v3, 1, v3
	v_add_lshl_u32 v4, v3, v7, 2
	ds_bpermute_b32 v3, v4, v1
	ds_bpermute_b32 v4, v4, v2
	s_waitcnt lgkmcnt(0)
	v_add_f64 v[1:2], v[1:2], v[3:4]
	v_cndmask_b32_e64 v3, 0, 1, vcc_lo
	s_delay_alu instid0(VALU_DEP_1) | instskip(NEXT) | instid1(VALU_DEP_1)
	v_lshlrev_b32_e32 v3, 2, v3
	v_add_lshl_u32 v4, v3, v7, 2
	ds_bpermute_b32 v3, v4, v1
	ds_bpermute_b32 v4, v4, v2
	s_waitcnt lgkmcnt(0)
	v_add_f64 v[1:2], v[1:2], v[3:4]
.LBB8_5:
	s_or_b32 exec_lo, exec_lo, s0
	s_branch .LBB8_32
.LBB8_6:
                                        ; implicit-def: $vgpr1_vgpr2
	s_cbranch_execz .LBB8_32
; %bb.7:
	s_sub_i32 s1, s2, s10
	s_mov_b32 s0, exec_lo
                                        ; implicit-def: $vgpr1_vgpr2_vgpr3_vgpr4
	v_cmpx_gt_u32_e64 s1, v0
	s_cbranch_execz .LBB8_9
; %bb.8:
	global_load_b64 v[1:2], v[5:6], off
.LBB8_9:
	s_or_b32 exec_lo, exec_lo, s0
	v_or_b32_e32 v8, 0x100, v0
	s_delay_alu instid0(VALU_DEP_1)
	v_cmp_gt_u32_e32 vcc_lo, s1, v8
	s_and_saveexec_b32 s0, vcc_lo
	s_cbranch_execz .LBB8_11
; %bb.10:
	global_load_b64 v[3:4], v[5:6], off offset:2048
.LBB8_11:
	s_or_b32 exec_lo, exec_lo, s0
	s_waitcnt vmcnt(0)
	v_add_f64 v[3:4], v[1:2], v[3:4]
	v_cmp_ne_u32_e64 s0, 31, v7
	v_add_nc_u32_e32 v6, 1, v7
	s_delay_alu instid0(VALU_DEP_2) | instskip(SKIP_2) | instid1(VALU_DEP_1)
	v_add_co_ci_u32_e64 v5, s0, 0, v7, s0
	s_min_u32 s0, s1, 0x100
	s_mov_b32 s1, exec_lo
	v_dual_cndmask_b32 v2, v2, v4 :: v_dual_lshlrev_b32 v5, 2, v5
	v_cndmask_b32_e32 v1, v1, v3, vcc_lo
	ds_bpermute_b32 v4, v5, v2
	ds_bpermute_b32 v3, v5, v1
	v_and_b32_e32 v5, 0xe0, v0
	s_delay_alu instid0(VALU_DEP_1) | instskip(NEXT) | instid1(VALU_DEP_1)
	v_sub_nc_u32_e64 v5, s0, v5 clamp
	v_cmpx_lt_u32_e64 v6, v5
	s_cbranch_execz .LBB8_13
; %bb.12:
	s_waitcnt lgkmcnt(0)
	v_add_f64 v[1:2], v[1:2], v[3:4]
.LBB8_13:
	s_or_b32 exec_lo, exec_lo, s1
	v_cmp_gt_u32_e32 vcc_lo, 30, v7
	v_add_nc_u32_e32 v6, 2, v7
	s_mov_b32 s1, exec_lo
	s_waitcnt lgkmcnt(0)
	v_cndmask_b32_e64 v3, 0, 1, vcc_lo
	s_delay_alu instid0(VALU_DEP_1) | instskip(NEXT) | instid1(VALU_DEP_1)
	v_lshlrev_b32_e32 v3, 1, v3
	v_add_lshl_u32 v4, v3, v7, 2
	ds_bpermute_b32 v3, v4, v1
	ds_bpermute_b32 v4, v4, v2
	v_cmpx_lt_u32_e64 v6, v5
	s_cbranch_execz .LBB8_15
; %bb.14:
	s_waitcnt lgkmcnt(0)
	v_add_f64 v[1:2], v[1:2], v[3:4]
.LBB8_15:
	s_or_b32 exec_lo, exec_lo, s1
	v_cmp_gt_u32_e32 vcc_lo, 28, v7
	v_add_nc_u32_e32 v6, 4, v7
	s_mov_b32 s1, exec_lo
	s_waitcnt lgkmcnt(1)
	v_cndmask_b32_e64 v3, 0, 1, vcc_lo
	s_delay_alu instid0(VALU_DEP_1) | instskip(SKIP_1) | instid1(VALU_DEP_1)
	v_lshlrev_b32_e32 v3, 2, v3
	s_waitcnt lgkmcnt(0)
	v_add_lshl_u32 v4, v3, v7, 2
	ds_bpermute_b32 v3, v4, v1
	ds_bpermute_b32 v4, v4, v2
	v_cmpx_lt_u32_e64 v6, v5
	s_cbranch_execz .LBB8_17
; %bb.16:
	s_waitcnt lgkmcnt(0)
	v_add_f64 v[1:2], v[1:2], v[3:4]
.LBB8_17:
	s_or_b32 exec_lo, exec_lo, s1
	v_cmp_gt_u32_e32 vcc_lo, 24, v7
	v_add_nc_u32_e32 v6, 8, v7
	s_mov_b32 s1, exec_lo
	s_waitcnt lgkmcnt(1)
	v_cndmask_b32_e64 v3, 0, 1, vcc_lo
	s_delay_alu instid0(VALU_DEP_1) | instskip(SKIP_1) | instid1(VALU_DEP_1)
	v_lshlrev_b32_e32 v3, 3, v3
	s_waitcnt lgkmcnt(0)
	;; [unrolled: 18-line block ×3, first 2 shown]
	v_add_lshl_u32 v4, v3, v7, 2
	ds_bpermute_b32 v3, v4, v1
	ds_bpermute_b32 v4, v4, v2
	v_cmpx_lt_u32_e64 v6, v5
	s_cbranch_execz .LBB8_21
; %bb.20:
	s_waitcnt lgkmcnt(0)
	v_add_f64 v[1:2], v[1:2], v[3:4]
.LBB8_21:
	s_or_b32 exec_lo, exec_lo, s1
	s_delay_alu instid0(SALU_CYCLE_1)
	s_mov_b32 s1, exec_lo
	v_cmpx_eq_u32_e32 0, v7
	s_cbranch_execz .LBB8_23
; %bb.22:
	s_waitcnt lgkmcnt(1)
	v_lshrrev_b32_e32 v3, 2, v0
	s_delay_alu instid0(VALU_DEP_1)
	v_and_b32_e32 v3, 56, v3
	ds_store_b64 v3, v[1:2] offset:64
.LBB8_23:
	s_or_b32 exec_lo, exec_lo, s1
	s_delay_alu instid0(SALU_CYCLE_1)
	s_mov_b32 s1, exec_lo
	s_waitcnt lgkmcnt(0)
	s_barrier
	buffer_gl0_inv
	v_cmpx_gt_u32_e32 8, v0
	s_cbranch_execz .LBB8_31
; %bb.24:
	v_lshlrev_b32_e32 v1, 3, v7
	v_and_b32_e32 v5, 7, v7
	s_add_i32 s0, s0, 31
	s_mov_b32 s10, exec_lo
	s_lshr_b32 s0, s0, 5
	ds_load_b64 v[1:2], v1 offset:64
	v_cmp_ne_u32_e32 vcc_lo, 7, v5
	v_add_nc_u32_e32 v6, 1, v5
	v_add_co_ci_u32_e32 v3, vcc_lo, 0, v7, vcc_lo
	s_delay_alu instid0(VALU_DEP_1)
	v_lshlrev_b32_e32 v4, 2, v3
	s_waitcnt lgkmcnt(0)
	ds_bpermute_b32 v3, v4, v1
	ds_bpermute_b32 v4, v4, v2
	v_cmpx_gt_u32_e64 s0, v6
	s_cbranch_execz .LBB8_26
; %bb.25:
	s_waitcnt lgkmcnt(0)
	v_add_f64 v[1:2], v[1:2], v[3:4]
.LBB8_26:
	s_or_b32 exec_lo, exec_lo, s10
	v_cmp_gt_u32_e32 vcc_lo, 6, v5
	v_add_nc_u32_e32 v6, 2, v5
	s_mov_b32 s10, exec_lo
	s_waitcnt lgkmcnt(1)
	v_cndmask_b32_e64 v3, 0, 1, vcc_lo
	s_delay_alu instid0(VALU_DEP_1) | instskip(SKIP_1) | instid1(VALU_DEP_1)
	v_lshlrev_b32_e32 v3, 1, v3
	s_waitcnt lgkmcnt(0)
	v_add_lshl_u32 v4, v3, v7, 2
	ds_bpermute_b32 v3, v4, v1
	ds_bpermute_b32 v4, v4, v2
	v_cmpx_gt_u32_e64 s0, v6
	s_cbranch_execz .LBB8_28
; %bb.27:
	s_waitcnt lgkmcnt(0)
	v_add_f64 v[1:2], v[1:2], v[3:4]
.LBB8_28:
	s_or_b32 exec_lo, exec_lo, s10
	v_cmp_gt_u32_e32 vcc_lo, 4, v5
	v_add_nc_u32_e32 v5, 4, v5
	s_waitcnt lgkmcnt(1)
	v_cndmask_b32_e64 v3, 0, 1, vcc_lo
	s_delay_alu instid0(VALU_DEP_2) | instskip(NEXT) | instid1(VALU_DEP_2)
	v_cmp_gt_u32_e32 vcc_lo, s0, v5
	v_lshlrev_b32_e32 v3, 2, v3
	s_waitcnt lgkmcnt(0)
	s_delay_alu instid0(VALU_DEP_1)
	v_add_lshl_u32 v4, v3, v7, 2
	ds_bpermute_b32 v3, v4, v1
	ds_bpermute_b32 v4, v4, v2
	s_and_saveexec_b32 s0, vcc_lo
	s_cbranch_execz .LBB8_30
; %bb.29:
	s_waitcnt lgkmcnt(0)
	v_add_f64 v[1:2], v[1:2], v[3:4]
.LBB8_30:
	s_or_b32 exec_lo, exec_lo, s0
.LBB8_31:
	s_delay_alu instid0(SALU_CYCLE_1)
	s_or_b32 exec_lo, exec_lo, s1
.LBB8_32:
	s_delay_alu instid0(SALU_CYCLE_1)
	s_mov_b32 s0, exec_lo
	v_cmpx_eq_u32_e32 0, v0
	s_cbranch_execz .LBB8_34
; %bb.33:
	s_delay_alu instid0(VALU_DEP_2)
	v_add_f64 v[0:1], v[1:2], s[6:7]
	s_lshl_b64 s[0:1], s[8:9], 3
	v_mov_b32_e32 v2, 0
	s_add_u32 s0, s4, s0
	s_addc_u32 s1, s5, s1
	s_cmp_eq_u64 s[2:3], 0
	s_cselect_b32 s2, -1, 0
	s_delay_alu instid0(VALU_DEP_2) | instid1(SALU_CYCLE_1)
	v_cndmask_b32_e64 v1, v1, s7, s2
	s_delay_alu instid0(VALU_DEP_3)
	v_cndmask_b32_e64 v0, v0, s6, s2
	global_store_b64 v2, v[0:1], s[0:1]
.LBB8_34:
	s_nop 0
	s_sendmsg sendmsg(MSG_DEALLOC_VGPRS)
	s_endpgm
	.section	.rodata,"a",@progbits
	.p2align	6, 0x0
	.amdhsa_kernel _ZN7rocprim6detail19block_reduce_kernelILb1ELb0ELj2ENS0_21wrapped_reduce_configINS_14default_configEdEEdPdS5_dNS_4plusIdEEEEvT4_mT5_T6_T7_
		.amdhsa_group_segment_fixed_size 128
		.amdhsa_private_segment_fixed_size 0
		.amdhsa_kernarg_size 36
		.amdhsa_user_sgpr_count 15
		.amdhsa_user_sgpr_dispatch_ptr 0
		.amdhsa_user_sgpr_queue_ptr 0
		.amdhsa_user_sgpr_kernarg_segment_ptr 1
		.amdhsa_user_sgpr_dispatch_id 0
		.amdhsa_user_sgpr_private_segment_size 0
		.amdhsa_wavefront_size32 1
		.amdhsa_uses_dynamic_stack 0
		.amdhsa_enable_private_segment 0
		.amdhsa_system_sgpr_workgroup_id_x 1
		.amdhsa_system_sgpr_workgroup_id_y 0
		.amdhsa_system_sgpr_workgroup_id_z 0
		.amdhsa_system_sgpr_workgroup_info 0
		.amdhsa_system_vgpr_workitem_id 0
		.amdhsa_next_free_vgpr 9
		.amdhsa_next_free_sgpr 16
		.amdhsa_reserve_vcc 1
		.amdhsa_float_round_mode_32 0
		.amdhsa_float_round_mode_16_64 0
		.amdhsa_float_denorm_mode_32 3
		.amdhsa_float_denorm_mode_16_64 3
		.amdhsa_dx10_clamp 1
		.amdhsa_ieee_mode 1
		.amdhsa_fp16_overflow 0
		.amdhsa_workgroup_processor_mode 1
		.amdhsa_memory_ordered 1
		.amdhsa_forward_progress 0
		.amdhsa_shared_vgpr_count 0
		.amdhsa_exception_fp_ieee_invalid_op 0
		.amdhsa_exception_fp_denorm_src 0
		.amdhsa_exception_fp_ieee_div_zero 0
		.amdhsa_exception_fp_ieee_overflow 0
		.amdhsa_exception_fp_ieee_underflow 0
		.amdhsa_exception_fp_ieee_inexact 0
		.amdhsa_exception_int_div_zero 0
	.end_amdhsa_kernel
	.section	.text._ZN7rocprim6detail19block_reduce_kernelILb1ELb0ELj2ENS0_21wrapped_reduce_configINS_14default_configEdEEdPdS5_dNS_4plusIdEEEEvT4_mT5_T6_T7_,"axG",@progbits,_ZN7rocprim6detail19block_reduce_kernelILb1ELb0ELj2ENS0_21wrapped_reduce_configINS_14default_configEdEEdPdS5_dNS_4plusIdEEEEvT4_mT5_T6_T7_,comdat
.Lfunc_end8:
	.size	_ZN7rocprim6detail19block_reduce_kernelILb1ELb0ELj2ENS0_21wrapped_reduce_configINS_14default_configEdEEdPdS5_dNS_4plusIdEEEEvT4_mT5_T6_T7_, .Lfunc_end8-_ZN7rocprim6detail19block_reduce_kernelILb1ELb0ELj2ENS0_21wrapped_reduce_configINS_14default_configEdEEdPdS5_dNS_4plusIdEEEEvT4_mT5_T6_T7_
                                        ; -- End function
	.section	.AMDGPU.csdata,"",@progbits
; Kernel info:
; codeLenInByte = 1536
; NumSgprs: 18
; NumVgprs: 9
; ScratchSize: 0
; MemoryBound: 1
; FloatMode: 240
; IeeeMode: 1
; LDSByteSize: 128 bytes/workgroup (compile time only)
; SGPRBlocks: 2
; VGPRBlocks: 1
; NumSGPRsForWavesPerEU: 18
; NumVGPRsForWavesPerEU: 9
; Occupancy: 16
; WaveLimiterHint : 1
; COMPUTE_PGM_RSRC2:SCRATCH_EN: 0
; COMPUTE_PGM_RSRC2:USER_SGPR: 15
; COMPUTE_PGM_RSRC2:TRAP_HANDLER: 0
; COMPUTE_PGM_RSRC2:TGID_X_EN: 1
; COMPUTE_PGM_RSRC2:TGID_Y_EN: 0
; COMPUTE_PGM_RSRC2:TGID_Z_EN: 0
; COMPUTE_PGM_RSRC2:TIDIG_COMP_CNT: 0
	.section	.text._ZN7rocprim6detail19block_reduce_kernelILb1ELb0ELj1ENS0_21wrapped_reduce_configINS_14default_configEdEEdPdS5_dNS_4plusIdEEEEvT4_mT5_T6_T7_,"axG",@progbits,_ZN7rocprim6detail19block_reduce_kernelILb1ELb0ELj1ENS0_21wrapped_reduce_configINS_14default_configEdEEdPdS5_dNS_4plusIdEEEEvT4_mT5_T6_T7_,comdat
	.protected	_ZN7rocprim6detail19block_reduce_kernelILb1ELb0ELj1ENS0_21wrapped_reduce_configINS_14default_configEdEEdPdS5_dNS_4plusIdEEEEvT4_mT5_T6_T7_ ; -- Begin function _ZN7rocprim6detail19block_reduce_kernelILb1ELb0ELj1ENS0_21wrapped_reduce_configINS_14default_configEdEEdPdS5_dNS_4plusIdEEEEvT4_mT5_T6_T7_
	.globl	_ZN7rocprim6detail19block_reduce_kernelILb1ELb0ELj1ENS0_21wrapped_reduce_configINS_14default_configEdEEdPdS5_dNS_4plusIdEEEEvT4_mT5_T6_T7_
	.p2align	8
	.type	_ZN7rocprim6detail19block_reduce_kernelILb1ELb0ELj1ENS0_21wrapped_reduce_configINS_14default_configEdEEdPdS5_dNS_4plusIdEEEEvT4_mT5_T6_T7_,@function
_ZN7rocprim6detail19block_reduce_kernelILb1ELb0ELj1ENS0_21wrapped_reduce_configINS_14default_configEdEEdPdS5_dNS_4plusIdEEEEvT4_mT5_T6_T7_: ; @_ZN7rocprim6detail19block_reduce_kernelILb1ELb0ELj1ENS0_21wrapped_reduce_configINS_14default_configEdEEdPdS5_dNS_4plusIdEEEEvT4_mT5_T6_T7_
; %bb.0:
	s_load_b256 s[4:11], s[0:1], 0x0
	s_mov_b32 s1, 0
	s_lshl_b32 s0, s15, 10
	v_lshlrev_b32_e32 v1, 3, v0
	s_lshl_b64 s[2:3], s[0:1], 3
	s_mov_b32 s12, s15
	s_mov_b32 s13, s1
	v_mbcnt_lo_u32_b32 v11, -1, 0
	s_waitcnt lgkmcnt(0)
	s_lshr_b64 s[14:15], s[6:7], 10
	s_add_u32 s1, s4, s2
	s_addc_u32 s2, s5, s3
	v_add_co_u32 v9, s1, s1, v1
	s_delay_alu instid0(VALU_DEP_1)
	v_add_co_ci_u32_e64 v10, null, s2, 0, s1
	s_cmp_lg_u64 s[14:15], s[12:13]
	s_cbranch_scc0 .LBB9_6
; %bb.1:
	s_clause 0x1
	global_load_b64 v[1:2], v[9:10], off
	global_load_b64 v[3:4], v[9:10], off offset:2048
	v_add_co_u32 v5, vcc_lo, 0x1000, v9
	v_add_co_ci_u32_e32 v6, vcc_lo, 0, v10, vcc_lo
	s_mov_b32 s1, exec_lo
	s_clause 0x1
	global_load_b64 v[7:8], v[5:6], off
	global_load_b64 v[5:6], v[5:6], off offset:2048
	s_waitcnt vmcnt(2)
	v_add_f64 v[1:2], v[1:2], v[3:4]
	s_waitcnt vmcnt(1)
	s_delay_alu instid0(VALU_DEP_1) | instskip(SKIP_1) | instid1(VALU_DEP_1)
	v_add_f64 v[1:2], v[1:2], v[7:8]
	s_waitcnt vmcnt(0)
	v_add_f64 v[1:2], v[1:2], v[5:6]
	s_delay_alu instid0(VALU_DEP_1) | instskip(NEXT) | instid1(VALU_DEP_2)
	v_mov_b32_dpp v3, v1 quad_perm:[1,0,3,2] row_mask:0xf bank_mask:0xf
	v_mov_b32_dpp v4, v2 quad_perm:[1,0,3,2] row_mask:0xf bank_mask:0xf
	s_delay_alu instid0(VALU_DEP_1) | instskip(NEXT) | instid1(VALU_DEP_1)
	v_add_f64 v[1:2], v[1:2], v[3:4]
	v_mov_b32_dpp v3, v1 quad_perm:[2,3,0,1] row_mask:0xf bank_mask:0xf
	s_delay_alu instid0(VALU_DEP_2) | instskip(NEXT) | instid1(VALU_DEP_1)
	v_mov_b32_dpp v4, v2 quad_perm:[2,3,0,1] row_mask:0xf bank_mask:0xf
	v_add_f64 v[1:2], v[1:2], v[3:4]
	s_delay_alu instid0(VALU_DEP_1) | instskip(NEXT) | instid1(VALU_DEP_2)
	v_mov_b32_dpp v3, v1 row_ror:4 row_mask:0xf bank_mask:0xf
	v_mov_b32_dpp v4, v2 row_ror:4 row_mask:0xf bank_mask:0xf
	s_delay_alu instid0(VALU_DEP_1) | instskip(NEXT) | instid1(VALU_DEP_1)
	v_add_f64 v[1:2], v[1:2], v[3:4]
	v_mov_b32_dpp v3, v1 row_ror:8 row_mask:0xf bank_mask:0xf
	s_delay_alu instid0(VALU_DEP_2) | instskip(NEXT) | instid1(VALU_DEP_1)
	v_mov_b32_dpp v4, v2 row_ror:8 row_mask:0xf bank_mask:0xf
	v_add_f64 v[1:2], v[1:2], v[3:4]
	ds_swizzle_b32 v3, v1 offset:swizzle(BROADCAST,32,15)
	ds_swizzle_b32 v4, v2 offset:swizzle(BROADCAST,32,15)
	s_waitcnt lgkmcnt(0)
	v_add_f64 v[1:2], v[1:2], v[3:4]
	v_mov_b32_e32 v3, 0
	ds_bpermute_b32 v1, v3, v1 offset:124
	ds_bpermute_b32 v2, v3, v2 offset:124
	v_cmpx_eq_u32_e32 0, v11
	s_cbranch_execz .LBB9_3
; %bb.2:
	v_lshrrev_b32_e32 v3, 2, v0
	s_delay_alu instid0(VALU_DEP_1)
	v_and_b32_e32 v3, 56, v3
	s_waitcnt lgkmcnt(0)
	ds_store_b64 v3, v[1:2]
.LBB9_3:
	s_or_b32 exec_lo, exec_lo, s1
	s_delay_alu instid0(SALU_CYCLE_1)
	s_mov_b32 s1, exec_lo
	s_waitcnt lgkmcnt(0)
	s_barrier
	buffer_gl0_inv
	v_cmpx_gt_u32_e32 32, v0
	s_cbranch_execz .LBB9_5
; %bb.4:
	v_and_b32_e32 v5, 7, v11
	s_delay_alu instid0(VALU_DEP_1) | instskip(SKIP_4) | instid1(VALU_DEP_2)
	v_lshlrev_b32_e32 v1, 3, v5
	v_cmp_ne_u32_e32 vcc_lo, 7, v5
	ds_load_b64 v[1:2], v1
	v_add_co_ci_u32_e32 v3, vcc_lo, 0, v11, vcc_lo
	v_cmp_gt_u32_e32 vcc_lo, 6, v5
	v_lshlrev_b32_e32 v4, 2, v3
	s_waitcnt lgkmcnt(0)
	ds_bpermute_b32 v3, v4, v1
	ds_bpermute_b32 v4, v4, v2
	s_waitcnt lgkmcnt(0)
	v_add_f64 v[1:2], v[1:2], v[3:4]
	v_cndmask_b32_e64 v3, 0, 1, vcc_lo
	v_cmp_gt_u32_e32 vcc_lo, 4, v5
	s_delay_alu instid0(VALU_DEP_2) | instskip(NEXT) | instid1(VALU_DEP_1)
	v_lshlrev_b32_e32 v3, 1, v3
	v_add_lshl_u32 v4, v3, v11, 2
	ds_bpermute_b32 v3, v4, v1
	ds_bpermute_b32 v4, v4, v2
	s_waitcnt lgkmcnt(0)
	v_add_f64 v[1:2], v[1:2], v[3:4]
	v_cndmask_b32_e64 v3, 0, 1, vcc_lo
	s_delay_alu instid0(VALU_DEP_1) | instskip(NEXT) | instid1(VALU_DEP_1)
	v_lshlrev_b32_e32 v3, 2, v3
	v_add_lshl_u32 v4, v3, v11, 2
	ds_bpermute_b32 v3, v4, v1
	ds_bpermute_b32 v4, v4, v2
	s_waitcnt lgkmcnt(0)
	v_add_f64 v[1:2], v[1:2], v[3:4]
.LBB9_5:
	s_or_b32 exec_lo, exec_lo, s1
	s_branch .LBB9_36
.LBB9_6:
                                        ; implicit-def: $vgpr1_vgpr2
	s_cbranch_execz .LBB9_36
; %bb.7:
	s_sub_i32 s3, s6, s0
	s_mov_b32 s0, exec_lo
                                        ; implicit-def: $vgpr1_vgpr2_vgpr3_vgpr4_vgpr5_vgpr6_vgpr7_vgpr8
	v_cmpx_gt_u32_e64 s3, v0
	s_cbranch_execz .LBB9_9
; %bb.8:
	global_load_b64 v[1:2], v[9:10], off
.LBB9_9:
	s_or_b32 exec_lo, exec_lo, s0
	v_or_b32_e32 v12, 0x100, v0
	s_delay_alu instid0(VALU_DEP_1)
	v_cmp_gt_u32_e32 vcc_lo, s3, v12
	s_and_saveexec_b32 s0, vcc_lo
	s_cbranch_execz .LBB9_11
; %bb.10:
	global_load_b64 v[3:4], v[9:10], off offset:2048
.LBB9_11:
	s_or_b32 exec_lo, exec_lo, s0
	v_or_b32_e32 v12, 0x200, v0
	s_delay_alu instid0(VALU_DEP_1) | instskip(NEXT) | instid1(VALU_DEP_1)
	v_cmp_gt_u32_e64 s0, s3, v12
	s_and_saveexec_b32 s2, s0
	s_cbranch_execz .LBB9_13
; %bb.12:
	v_add_co_u32 v5, s1, 0x1000, v9
	s_delay_alu instid0(VALU_DEP_1)
	v_add_co_ci_u32_e64 v6, s1, 0, v10, s1
	global_load_b64 v[5:6], v[5:6], off
.LBB9_13:
	s_or_b32 exec_lo, exec_lo, s2
	v_or_b32_e32 v12, 0x300, v0
	s_delay_alu instid0(VALU_DEP_1) | instskip(NEXT) | instid1(VALU_DEP_1)
	v_cmp_gt_u32_e64 s1, s3, v12
	s_and_saveexec_b32 s4, s1
	s_cbranch_execz .LBB9_15
; %bb.14:
	v_add_co_u32 v7, s2, 0x1000, v9
	s_delay_alu instid0(VALU_DEP_1)
	v_add_co_ci_u32_e64 v8, s2, 0, v10, s2
	global_load_b64 v[7:8], v[7:8], off offset:2048
.LBB9_15:
	s_or_b32 exec_lo, exec_lo, s4
	s_waitcnt vmcnt(0)
	v_add_f64 v[3:4], v[1:2], v[3:4]
	s_delay_alu instid0(VALU_DEP_1) | instskip(SKIP_1) | instid1(VALU_DEP_2)
	v_dual_cndmask_b32 v2, v2, v4 :: v_dual_cndmask_b32 v1, v1, v3
	v_cmp_ne_u32_e32 vcc_lo, 31, v11
	v_add_f64 v[3:4], v[5:6], v[1:2]
	v_add_co_ci_u32_e32 v5, vcc_lo, 0, v11, vcc_lo
	v_add_nc_u32_e32 v6, 1, v11
	s_delay_alu instid0(VALU_DEP_2) | instskip(NEXT) | instid1(VALU_DEP_4)
	v_lshlrev_b32_e32 v5, 2, v5
	v_cndmask_b32_e64 v2, v2, v4, s0
	v_cndmask_b32_e64 v1, v1, v3, s0
	s_min_u32 s0, s3, 0x100
	s_delay_alu instid0(VALU_DEP_1) | instskip(NEXT) | instid1(VALU_DEP_1)
	v_add_f64 v[3:4], v[7:8], v[1:2]
	v_cndmask_b32_e64 v1, v1, v3, s1
	s_delay_alu instid0(VALU_DEP_2) | instskip(SKIP_4) | instid1(VALU_DEP_1)
	v_cndmask_b32_e64 v2, v2, v4, s1
	s_mov_b32 s1, exec_lo
	ds_bpermute_b32 v3, v5, v1
	ds_bpermute_b32 v4, v5, v2
	v_and_b32_e32 v5, 0xe0, v0
	v_sub_nc_u32_e64 v5, s0, v5 clamp
	s_delay_alu instid0(VALU_DEP_1)
	v_cmpx_lt_u32_e64 v6, v5
	s_cbranch_execz .LBB9_17
; %bb.16:
	s_waitcnt lgkmcnt(0)
	v_add_f64 v[1:2], v[1:2], v[3:4]
.LBB9_17:
	s_or_b32 exec_lo, exec_lo, s1
	v_cmp_gt_u32_e32 vcc_lo, 30, v11
	v_add_nc_u32_e32 v6, 2, v11
	s_mov_b32 s1, exec_lo
	s_waitcnt lgkmcnt(1)
	v_cndmask_b32_e64 v3, 0, 1, vcc_lo
	s_delay_alu instid0(VALU_DEP_1) | instskip(SKIP_1) | instid1(VALU_DEP_1)
	v_lshlrev_b32_e32 v3, 1, v3
	s_waitcnt lgkmcnt(0)
	v_add_lshl_u32 v4, v3, v11, 2
	ds_bpermute_b32 v3, v4, v1
	ds_bpermute_b32 v4, v4, v2
	v_cmpx_lt_u32_e64 v6, v5
	s_cbranch_execz .LBB9_19
; %bb.18:
	s_waitcnt lgkmcnt(0)
	v_add_f64 v[1:2], v[1:2], v[3:4]
.LBB9_19:
	s_or_b32 exec_lo, exec_lo, s1
	v_cmp_gt_u32_e32 vcc_lo, 28, v11
	v_add_nc_u32_e32 v6, 4, v11
	s_mov_b32 s1, exec_lo
	s_waitcnt lgkmcnt(1)
	v_cndmask_b32_e64 v3, 0, 1, vcc_lo
	s_delay_alu instid0(VALU_DEP_1) | instskip(SKIP_1) | instid1(VALU_DEP_1)
	v_lshlrev_b32_e32 v3, 2, v3
	s_waitcnt lgkmcnt(0)
	v_add_lshl_u32 v4, v3, v11, 2
	ds_bpermute_b32 v3, v4, v1
	ds_bpermute_b32 v4, v4, v2
	;; [unrolled: 18-line block ×4, first 2 shown]
	v_cmpx_lt_u32_e64 v6, v5
	s_cbranch_execz .LBB9_25
; %bb.24:
	s_waitcnt lgkmcnt(0)
	v_add_f64 v[1:2], v[1:2], v[3:4]
.LBB9_25:
	s_or_b32 exec_lo, exec_lo, s1
	s_delay_alu instid0(SALU_CYCLE_1)
	s_mov_b32 s1, exec_lo
	v_cmpx_eq_u32_e32 0, v11
	s_cbranch_execz .LBB9_27
; %bb.26:
	s_waitcnt lgkmcnt(1)
	v_lshrrev_b32_e32 v3, 2, v0
	s_delay_alu instid0(VALU_DEP_1)
	v_and_b32_e32 v3, 56, v3
	ds_store_b64 v3, v[1:2] offset:64
.LBB9_27:
	s_or_b32 exec_lo, exec_lo, s1
	s_delay_alu instid0(SALU_CYCLE_1)
	s_mov_b32 s1, exec_lo
	s_waitcnt lgkmcnt(0)
	s_barrier
	buffer_gl0_inv
	v_cmpx_gt_u32_e32 8, v0
	s_cbranch_execz .LBB9_35
; %bb.28:
	v_lshlrev_b32_e32 v1, 3, v11
	v_and_b32_e32 v5, 7, v11
	s_add_i32 s0, s0, 31
	s_mov_b32 s2, exec_lo
	s_lshr_b32 s0, s0, 5
	ds_load_b64 v[1:2], v1 offset:64
	v_cmp_ne_u32_e32 vcc_lo, 7, v5
	v_add_nc_u32_e32 v6, 1, v5
	v_add_co_ci_u32_e32 v3, vcc_lo, 0, v11, vcc_lo
	s_delay_alu instid0(VALU_DEP_1)
	v_lshlrev_b32_e32 v4, 2, v3
	s_waitcnt lgkmcnt(0)
	ds_bpermute_b32 v3, v4, v1
	ds_bpermute_b32 v4, v4, v2
	v_cmpx_gt_u32_e64 s0, v6
	s_cbranch_execz .LBB9_30
; %bb.29:
	s_waitcnt lgkmcnt(0)
	v_add_f64 v[1:2], v[1:2], v[3:4]
.LBB9_30:
	s_or_b32 exec_lo, exec_lo, s2
	v_cmp_gt_u32_e32 vcc_lo, 6, v5
	v_add_nc_u32_e32 v6, 2, v5
	s_mov_b32 s2, exec_lo
	s_waitcnt lgkmcnt(1)
	v_cndmask_b32_e64 v3, 0, 1, vcc_lo
	s_delay_alu instid0(VALU_DEP_1) | instskip(SKIP_1) | instid1(VALU_DEP_1)
	v_lshlrev_b32_e32 v3, 1, v3
	s_waitcnt lgkmcnt(0)
	v_add_lshl_u32 v4, v3, v11, 2
	ds_bpermute_b32 v3, v4, v1
	ds_bpermute_b32 v4, v4, v2
	v_cmpx_gt_u32_e64 s0, v6
	s_cbranch_execz .LBB9_32
; %bb.31:
	s_waitcnt lgkmcnt(0)
	v_add_f64 v[1:2], v[1:2], v[3:4]
.LBB9_32:
	s_or_b32 exec_lo, exec_lo, s2
	v_cmp_gt_u32_e32 vcc_lo, 4, v5
	v_add_nc_u32_e32 v5, 4, v5
	s_waitcnt lgkmcnt(1)
	v_cndmask_b32_e64 v3, 0, 1, vcc_lo
	s_delay_alu instid0(VALU_DEP_2) | instskip(NEXT) | instid1(VALU_DEP_2)
	v_cmp_gt_u32_e32 vcc_lo, s0, v5
	v_lshlrev_b32_e32 v3, 2, v3
	s_waitcnt lgkmcnt(0)
	s_delay_alu instid0(VALU_DEP_1)
	v_add_lshl_u32 v4, v3, v11, 2
	ds_bpermute_b32 v3, v4, v1
	ds_bpermute_b32 v4, v4, v2
	s_and_saveexec_b32 s0, vcc_lo
	s_cbranch_execz .LBB9_34
; %bb.33:
	s_waitcnt lgkmcnt(0)
	v_add_f64 v[1:2], v[1:2], v[3:4]
.LBB9_34:
	s_or_b32 exec_lo, exec_lo, s0
.LBB9_35:
	s_delay_alu instid0(SALU_CYCLE_1)
	s_or_b32 exec_lo, exec_lo, s1
.LBB9_36:
	s_delay_alu instid0(SALU_CYCLE_1)
	s_mov_b32 s0, exec_lo
	v_cmpx_eq_u32_e32 0, v0
	s_cbranch_execz .LBB9_38
; %bb.37:
	s_delay_alu instid0(VALU_DEP_2)
	v_add_f64 v[0:1], v[1:2], s[10:11]
	s_lshl_b64 s[0:1], s[12:13], 3
	v_mov_b32_e32 v2, 0
	s_add_u32 s0, s8, s0
	s_addc_u32 s1, s9, s1
	s_cmp_eq_u64 s[6:7], 0
	s_cselect_b32 s2, -1, 0
	s_delay_alu instid0(VALU_DEP_2) | instid1(SALU_CYCLE_1)
	v_cndmask_b32_e64 v1, v1, s11, s2
	s_delay_alu instid0(VALU_DEP_3)
	v_cndmask_b32_e64 v0, v0, s10, s2
	global_store_b64 v2, v[0:1], s[0:1]
.LBB9_38:
	s_nop 0
	s_sendmsg sendmsg(MSG_DEALLOC_VGPRS)
	s_endpgm
	.section	.rodata,"a",@progbits
	.p2align	6, 0x0
	.amdhsa_kernel _ZN7rocprim6detail19block_reduce_kernelILb1ELb0ELj1ENS0_21wrapped_reduce_configINS_14default_configEdEEdPdS5_dNS_4plusIdEEEEvT4_mT5_T6_T7_
		.amdhsa_group_segment_fixed_size 128
		.amdhsa_private_segment_fixed_size 0
		.amdhsa_kernarg_size 36
		.amdhsa_user_sgpr_count 15
		.amdhsa_user_sgpr_dispatch_ptr 0
		.amdhsa_user_sgpr_queue_ptr 0
		.amdhsa_user_sgpr_kernarg_segment_ptr 1
		.amdhsa_user_sgpr_dispatch_id 0
		.amdhsa_user_sgpr_private_segment_size 0
		.amdhsa_wavefront_size32 1
		.amdhsa_uses_dynamic_stack 0
		.amdhsa_enable_private_segment 0
		.amdhsa_system_sgpr_workgroup_id_x 1
		.amdhsa_system_sgpr_workgroup_id_y 0
		.amdhsa_system_sgpr_workgroup_id_z 0
		.amdhsa_system_sgpr_workgroup_info 0
		.amdhsa_system_vgpr_workitem_id 0
		.amdhsa_next_free_vgpr 13
		.amdhsa_next_free_sgpr 16
		.amdhsa_reserve_vcc 1
		.amdhsa_float_round_mode_32 0
		.amdhsa_float_round_mode_16_64 0
		.amdhsa_float_denorm_mode_32 3
		.amdhsa_float_denorm_mode_16_64 3
		.amdhsa_dx10_clamp 1
		.amdhsa_ieee_mode 1
		.amdhsa_fp16_overflow 0
		.amdhsa_workgroup_processor_mode 1
		.amdhsa_memory_ordered 1
		.amdhsa_forward_progress 0
		.amdhsa_shared_vgpr_count 0
		.amdhsa_exception_fp_ieee_invalid_op 0
		.amdhsa_exception_fp_denorm_src 0
		.amdhsa_exception_fp_ieee_div_zero 0
		.amdhsa_exception_fp_ieee_overflow 0
		.amdhsa_exception_fp_ieee_underflow 0
		.amdhsa_exception_fp_ieee_inexact 0
		.amdhsa_exception_int_div_zero 0
	.end_amdhsa_kernel
	.section	.text._ZN7rocprim6detail19block_reduce_kernelILb1ELb0ELj1ENS0_21wrapped_reduce_configINS_14default_configEdEEdPdS5_dNS_4plusIdEEEEvT4_mT5_T6_T7_,"axG",@progbits,_ZN7rocprim6detail19block_reduce_kernelILb1ELb0ELj1ENS0_21wrapped_reduce_configINS_14default_configEdEEdPdS5_dNS_4plusIdEEEEvT4_mT5_T6_T7_,comdat
.Lfunc_end9:
	.size	_ZN7rocprim6detail19block_reduce_kernelILb1ELb0ELj1ENS0_21wrapped_reduce_configINS_14default_configEdEEdPdS5_dNS_4plusIdEEEEvT4_mT5_T6_T7_, .Lfunc_end9-_ZN7rocprim6detail19block_reduce_kernelILb1ELb0ELj1ENS0_21wrapped_reduce_configINS_14default_configEdEEdPdS5_dNS_4plusIdEEEEvT4_mT5_T6_T7_
                                        ; -- End function
	.section	.AMDGPU.csdata,"",@progbits
; Kernel info:
; codeLenInByte = 1784
; NumSgprs: 18
; NumVgprs: 13
; ScratchSize: 0
; MemoryBound: 1
; FloatMode: 240
; IeeeMode: 1
; LDSByteSize: 128 bytes/workgroup (compile time only)
; SGPRBlocks: 2
; VGPRBlocks: 1
; NumSGPRsForWavesPerEU: 18
; NumVGPRsForWavesPerEU: 13
; Occupancy: 16
; WaveLimiterHint : 1
; COMPUTE_PGM_RSRC2:SCRATCH_EN: 0
; COMPUTE_PGM_RSRC2:USER_SGPR: 15
; COMPUTE_PGM_RSRC2:TRAP_HANDLER: 0
; COMPUTE_PGM_RSRC2:TGID_X_EN: 1
; COMPUTE_PGM_RSRC2:TGID_Y_EN: 0
; COMPUTE_PGM_RSRC2:TGID_Z_EN: 0
; COMPUTE_PGM_RSRC2:TIDIG_COMP_CNT: 0
	.section	.text._ZN8rajaperf9algorithm10reduce_sumILm256EEEvPdS2_dl,"axG",@progbits,_ZN8rajaperf9algorithm10reduce_sumILm256EEEvPdS2_dl,comdat
	.protected	_ZN8rajaperf9algorithm10reduce_sumILm256EEEvPdS2_dl ; -- Begin function _ZN8rajaperf9algorithm10reduce_sumILm256EEEvPdS2_dl
	.globl	_ZN8rajaperf9algorithm10reduce_sumILm256EEEvPdS2_dl
	.p2align	8
	.type	_ZN8rajaperf9algorithm10reduce_sumILm256EEEvPdS2_dl,@function
_ZN8rajaperf9algorithm10reduce_sumILm256EEEvPdS2_dl: ; @_ZN8rajaperf9algorithm10reduce_sumILm256EEEvPdS2_dl
; %bb.0:
	s_load_b256 s[4:11], s[0:1], 0x0
	s_mov_b32 s2, s15
	s_mov_b32 s3, 0
	v_lshl_add_u32 v7, v0, 3, 0
	s_lshl_b64 s[12:13], s[2:3], 8
	s_mov_b32 s14, exec_lo
	v_mov_b32_e32 v2, s13
	v_or_b32_e32 v1, s12, v0
	s_waitcnt lgkmcnt(0)
	v_dual_mov_b32 v3, s8 :: v_dual_mov_b32 v4, s9
	ds_store_b64 v7, v[3:4]
	v_cmpx_gt_i64_e64 s[10:11], v[1:2]
	s_cbranch_execz .LBB10_4
; %bb.1:
	s_load_b32 s0, s[0:1], 0x20
	s_mov_b32 s1, s3
	v_lshlrev_b32_e32 v3, 3, v0
	s_lshl_b64 s[16:17], s[2:3], 11
	v_dual_mov_b32 v5, s8 :: v_dual_mov_b32 v6, s9
	s_waitcnt lgkmcnt(0)
	s_lshl_b64 s[12:13], s[0:1], 8
	s_add_u32 s2, s4, s16
	s_addc_u32 s4, s5, s17
	v_add_co_u32 v3, s2, s2, v3
	s_delay_alu instid0(VALU_DEP_1)
	v_add_co_ci_u32_e64 v4, null, s4, 0, s2
	s_lshl_b64 s[4:5], s[0:1], 11
.LBB10_2:                               ; =>This Inner Loop Header: Depth=1
	global_load_b64 v[8:9], v[3:4], off
	v_add_co_u32 v1, vcc_lo, v1, s12
	v_add_co_ci_u32_e32 v2, vcc_lo, s13, v2, vcc_lo
	v_add_co_u32 v3, s0, v3, s4
	s_delay_alu instid0(VALU_DEP_1) | instskip(NEXT) | instid1(VALU_DEP_3)
	v_add_co_ci_u32_e64 v4, s0, s5, v4, s0
	v_cmp_le_i64_e32 vcc_lo, s[10:11], v[1:2]
	s_or_b32 s3, vcc_lo, s3
	s_waitcnt vmcnt(0)
	v_add_f64 v[5:6], v[8:9], v[5:6]
	s_and_not1_b32 exec_lo, exec_lo, s3
	s_cbranch_execnz .LBB10_2
; %bb.3:
	s_or_b32 exec_lo, exec_lo, s3
	ds_store_b64 v7, v[5:6]
.LBB10_4:
	s_or_b32 exec_lo, exec_lo, s14
	s_delay_alu instid0(SALU_CYCLE_1)
	s_mov_b32 s0, exec_lo
	s_waitcnt lgkmcnt(0)
	s_barrier
	buffer_gl0_inv
	v_cmpx_gt_u32_e32 0x80, v0
	s_cbranch_execz .LBB10_6
; %bb.5:
	ds_load_2addr_stride64_b64 v[1:4], v7 offset1:2
	s_waitcnt lgkmcnt(0)
	v_add_f64 v[1:2], v[3:4], v[1:2]
	ds_store_b64 v7, v[1:2]
.LBB10_6:
	s_or_b32 exec_lo, exec_lo, s0
	s_delay_alu instid0(SALU_CYCLE_1)
	s_mov_b32 s0, exec_lo
	s_waitcnt lgkmcnt(0)
	s_barrier
	buffer_gl0_inv
	v_cmpx_gt_u32_e32 64, v0
	s_cbranch_execz .LBB10_8
; %bb.7:
	ds_load_2addr_stride64_b64 v[1:4], v7 offset1:1
	s_waitcnt lgkmcnt(0)
	v_add_f64 v[1:2], v[3:4], v[1:2]
	ds_store_b64 v7, v[1:2]
.LBB10_8:
	s_or_b32 exec_lo, exec_lo, s0
	s_delay_alu instid0(SALU_CYCLE_1)
	s_mov_b32 s0, exec_lo
	s_waitcnt lgkmcnt(0)
	s_barrier
	buffer_gl0_inv
	v_cmpx_gt_u32_e32 32, v0
	s_cbranch_execz .LBB10_10
; %bb.9:
	ds_load_2addr_b64 v[1:4], v7 offset1:32
	s_waitcnt lgkmcnt(0)
	v_add_f64 v[1:2], v[3:4], v[1:2]
	ds_store_b64 v7, v[1:2]
.LBB10_10:
	s_or_b32 exec_lo, exec_lo, s0
	s_delay_alu instid0(SALU_CYCLE_1)
	s_mov_b32 s0, exec_lo
	s_waitcnt lgkmcnt(0)
	s_barrier
	buffer_gl0_inv
	v_cmpx_gt_u32_e32 16, v0
	s_cbranch_execz .LBB10_12
; %bb.11:
	ds_load_2addr_b64 v[1:4], v7 offset1:16
	s_waitcnt lgkmcnt(0)
	v_add_f64 v[1:2], v[3:4], v[1:2]
	ds_store_b64 v7, v[1:2]
.LBB10_12:
	s_or_b32 exec_lo, exec_lo, s0
	s_delay_alu instid0(SALU_CYCLE_1)
	s_mov_b32 s0, exec_lo
	s_waitcnt lgkmcnt(0)
	s_barrier
	buffer_gl0_inv
	v_cmpx_gt_u32_e32 8, v0
	s_cbranch_execz .LBB10_14
; %bb.13:
	ds_load_2addr_b64 v[1:4], v7 offset1:8
	s_waitcnt lgkmcnt(0)
	v_add_f64 v[1:2], v[3:4], v[1:2]
	ds_store_b64 v7, v[1:2]
.LBB10_14:
	s_or_b32 exec_lo, exec_lo, s0
	s_delay_alu instid0(SALU_CYCLE_1)
	s_mov_b32 s0, exec_lo
	s_waitcnt lgkmcnt(0)
	s_barrier
	buffer_gl0_inv
	v_cmpx_gt_u32_e32 4, v0
	s_cbranch_execz .LBB10_16
; %bb.15:
	ds_load_2addr_b64 v[1:4], v7 offset1:4
	s_waitcnt lgkmcnt(0)
	v_add_f64 v[1:2], v[3:4], v[1:2]
	ds_store_b64 v7, v[1:2]
.LBB10_16:
	s_or_b32 exec_lo, exec_lo, s0
	s_delay_alu instid0(SALU_CYCLE_1)
	s_mov_b32 s0, exec_lo
	s_waitcnt lgkmcnt(0)
	s_barrier
	buffer_gl0_inv
	v_cmpx_gt_u32_e32 2, v0
	s_cbranch_execz .LBB10_18
; %bb.17:
	ds_load_2addr_b64 v[1:4], v7 offset1:2
	s_waitcnt lgkmcnt(0)
	v_add_f64 v[1:2], v[3:4], v[1:2]
	ds_store_b64 v7, v[1:2]
.LBB10_18:
	s_or_b32 exec_lo, exec_lo, s0
	v_cmp_eq_u32_e32 vcc_lo, 0, v0
	s_waitcnt lgkmcnt(0)
	s_barrier
	buffer_gl0_inv
	s_and_saveexec_b32 s0, vcc_lo
	s_cbranch_execz .LBB10_20
; %bb.19:
	v_mov_b32_e32 v0, 0
	ds_load_b64 v[0:1], v0 offset:8
	ds_load_b64 v[2:3], v7
	s_waitcnt lgkmcnt(0)
	v_add_f64 v[0:1], v[0:1], v[2:3]
	ds_store_b64 v7, v[0:1]
.LBB10_20:
	s_or_b32 exec_lo, exec_lo, s0
	s_waitcnt lgkmcnt(0)
	s_barrier
	buffer_gl0_inv
	s_and_saveexec_b32 s0, vcc_lo
	s_cbranch_execz .LBB10_24
; %bb.21:
	s_mov_b32 s0, exec_lo
	s_delay_alu instid0(SALU_CYCLE_1) | instskip(NEXT) | instid1(VALU_DEP_1)
	v_mbcnt_lo_u32_b32 v0, s0, 0
	v_cmp_eq_u32_e32 vcc_lo, 0, v0
	s_and_b32 s1, exec_lo, vcc_lo
	s_delay_alu instid0(SALU_CYCLE_1)
	s_mov_b32 exec_lo, s1
	s_cbranch_execz .LBB10_24
; %bb.22:
	s_bcnt1_i32_b32 s0, s0
	s_delay_alu instid0(SALU_CYCLE_1)
	v_cvt_f64_u32_e32 v[0:1], s0
	s_load_b64 s[0:1], s[6:7], 0x0
	v_mov_b32_e32 v6, 0
	ds_load_b64 v[2:3], v6
	s_waitcnt lgkmcnt(0)
	v_mul_f64 v[4:5], v[2:3], v[0:1]
	v_dual_mov_b32 v3, s1 :: v_dual_mov_b32 v2, s0
	s_mov_b32 s0, 0
.LBB10_23:                              ; =>This Inner Loop Header: Depth=1
	s_delay_alu instid0(VALU_DEP_1)
	v_add_f64 v[0:1], v[2:3], v[4:5]
	global_atomic_cmpswap_b64 v[0:1], v6, v[0:3], s[6:7] glc
	s_waitcnt vmcnt(0)
	v_cmp_eq_u64_e32 vcc_lo, v[0:1], v[2:3]
	v_dual_mov_b32 v3, v1 :: v_dual_mov_b32 v2, v0
	s_or_b32 s0, vcc_lo, s0
	s_delay_alu instid0(SALU_CYCLE_1)
	s_and_not1_b32 exec_lo, exec_lo, s0
	s_cbranch_execnz .LBB10_23
.LBB10_24:
	s_endpgm
	.section	.rodata,"a",@progbits
	.p2align	6, 0x0
	.amdhsa_kernel _ZN8rajaperf9algorithm10reduce_sumILm256EEEvPdS2_dl
		.amdhsa_group_segment_fixed_size 0
		.amdhsa_private_segment_fixed_size 0
		.amdhsa_kernarg_size 288
		.amdhsa_user_sgpr_count 15
		.amdhsa_user_sgpr_dispatch_ptr 0
		.amdhsa_user_sgpr_queue_ptr 0
		.amdhsa_user_sgpr_kernarg_segment_ptr 1
		.amdhsa_user_sgpr_dispatch_id 0
		.amdhsa_user_sgpr_private_segment_size 0
		.amdhsa_wavefront_size32 1
		.amdhsa_uses_dynamic_stack 0
		.amdhsa_enable_private_segment 0
		.amdhsa_system_sgpr_workgroup_id_x 1
		.amdhsa_system_sgpr_workgroup_id_y 0
		.amdhsa_system_sgpr_workgroup_id_z 0
		.amdhsa_system_sgpr_workgroup_info 0
		.amdhsa_system_vgpr_workitem_id 0
		.amdhsa_next_free_vgpr 10
		.amdhsa_next_free_sgpr 18
		.amdhsa_reserve_vcc 1
		.amdhsa_float_round_mode_32 0
		.amdhsa_float_round_mode_16_64 0
		.amdhsa_float_denorm_mode_32 3
		.amdhsa_float_denorm_mode_16_64 3
		.amdhsa_dx10_clamp 1
		.amdhsa_ieee_mode 1
		.amdhsa_fp16_overflow 0
		.amdhsa_workgroup_processor_mode 1
		.amdhsa_memory_ordered 1
		.amdhsa_forward_progress 0
		.amdhsa_shared_vgpr_count 0
		.amdhsa_exception_fp_ieee_invalid_op 0
		.amdhsa_exception_fp_denorm_src 0
		.amdhsa_exception_fp_ieee_div_zero 0
		.amdhsa_exception_fp_ieee_overflow 0
		.amdhsa_exception_fp_ieee_underflow 0
		.amdhsa_exception_fp_ieee_inexact 0
		.amdhsa_exception_int_div_zero 0
	.end_amdhsa_kernel
	.section	.text._ZN8rajaperf9algorithm10reduce_sumILm256EEEvPdS2_dl,"axG",@progbits,_ZN8rajaperf9algorithm10reduce_sumILm256EEEvPdS2_dl,comdat
.Lfunc_end10:
	.size	_ZN8rajaperf9algorithm10reduce_sumILm256EEEvPdS2_dl, .Lfunc_end10-_ZN8rajaperf9algorithm10reduce_sumILm256EEEvPdS2_dl
                                        ; -- End function
	.section	.AMDGPU.csdata,"",@progbits
; Kernel info:
; codeLenInByte = 920
; NumSgprs: 20
; NumVgprs: 10
; ScratchSize: 0
; MemoryBound: 0
; FloatMode: 240
; IeeeMode: 1
; LDSByteSize: 0 bytes/workgroup (compile time only)
; SGPRBlocks: 2
; VGPRBlocks: 1
; NumSGPRsForWavesPerEU: 20
; NumVGPRsForWavesPerEU: 10
; Occupancy: 16
; WaveLimiterHint : 0
; COMPUTE_PGM_RSRC2:SCRATCH_EN: 0
; COMPUTE_PGM_RSRC2:USER_SGPR: 15
; COMPUTE_PGM_RSRC2:TRAP_HANDLER: 0
; COMPUTE_PGM_RSRC2:TGID_X_EN: 1
; COMPUTE_PGM_RSRC2:TGID_Y_EN: 0
; COMPUTE_PGM_RSRC2:TGID_Z_EN: 0
; COMPUTE_PGM_RSRC2:TIDIG_COMP_CNT: 0
	.section	.text._ZN4RAJA6policy3hip4impl18forallp_hip_kernelINS1_8hip_execINS_17iteration_mapping6DirectENS_3hip11IndexGlobalILNS_9named_dimE0ELi256ELi0EEENS7_40AvoidDeviceMaxThreadOccupancyConcretizerINS7_34FractionOffsetOccupancyConcretizerINS_8FractionImLm1ELm1EEELln1EEEEELb1EEENS_9Iterators16numeric_iteratorIllPlEEZN8rajaperf9algorithm10REDUCE_SUM17runHipVariantRAJAILm256ENSM_13gpu_algorithm19block_atomic_helperENSM_11gpu_mapping20global_direct_helperEEEvNSM_9VariantIDEEUllE_lNS_4expt15ForallParamPackIJEEES6_SA_TnNSt9enable_ifIXaasr3std10is_base_ofINS5_10DirectBaseET4_EE5valuegtsrT5_10block_sizeLi0EEmE4typeELm256EEEvT1_T0_T2_T3_,"axG",@progbits,_ZN4RAJA6policy3hip4impl18forallp_hip_kernelINS1_8hip_execINS_17iteration_mapping6DirectENS_3hip11IndexGlobalILNS_9named_dimE0ELi256ELi0EEENS7_40AvoidDeviceMaxThreadOccupancyConcretizerINS7_34FractionOffsetOccupancyConcretizerINS_8FractionImLm1ELm1EEELln1EEEEELb1EEENS_9Iterators16numeric_iteratorIllPlEEZN8rajaperf9algorithm10REDUCE_SUM17runHipVariantRAJAILm256ENSM_13gpu_algorithm19block_atomic_helperENSM_11gpu_mapping20global_direct_helperEEEvNSM_9VariantIDEEUllE_lNS_4expt15ForallParamPackIJEEES6_SA_TnNSt9enable_ifIXaasr3std10is_base_ofINS5_10DirectBaseET4_EE5valuegtsrT5_10block_sizeLi0EEmE4typeELm256EEEvT1_T0_T2_T3_,comdat
	.protected	_ZN4RAJA6policy3hip4impl18forallp_hip_kernelINS1_8hip_execINS_17iteration_mapping6DirectENS_3hip11IndexGlobalILNS_9named_dimE0ELi256ELi0EEENS7_40AvoidDeviceMaxThreadOccupancyConcretizerINS7_34FractionOffsetOccupancyConcretizerINS_8FractionImLm1ELm1EEELln1EEEEELb1EEENS_9Iterators16numeric_iteratorIllPlEEZN8rajaperf9algorithm10REDUCE_SUM17runHipVariantRAJAILm256ENSM_13gpu_algorithm19block_atomic_helperENSM_11gpu_mapping20global_direct_helperEEEvNSM_9VariantIDEEUllE_lNS_4expt15ForallParamPackIJEEES6_SA_TnNSt9enable_ifIXaasr3std10is_base_ofINS5_10DirectBaseET4_EE5valuegtsrT5_10block_sizeLi0EEmE4typeELm256EEEvT1_T0_T2_T3_ ; -- Begin function _ZN4RAJA6policy3hip4impl18forallp_hip_kernelINS1_8hip_execINS_17iteration_mapping6DirectENS_3hip11IndexGlobalILNS_9named_dimE0ELi256ELi0EEENS7_40AvoidDeviceMaxThreadOccupancyConcretizerINS7_34FractionOffsetOccupancyConcretizerINS_8FractionImLm1ELm1EEELln1EEEEELb1EEENS_9Iterators16numeric_iteratorIllPlEEZN8rajaperf9algorithm10REDUCE_SUM17runHipVariantRAJAILm256ENSM_13gpu_algorithm19block_atomic_helperENSM_11gpu_mapping20global_direct_helperEEEvNSM_9VariantIDEEUllE_lNS_4expt15ForallParamPackIJEEES6_SA_TnNSt9enable_ifIXaasr3std10is_base_ofINS5_10DirectBaseET4_EE5valuegtsrT5_10block_sizeLi0EEmE4typeELm256EEEvT1_T0_T2_T3_
	.globl	_ZN4RAJA6policy3hip4impl18forallp_hip_kernelINS1_8hip_execINS_17iteration_mapping6DirectENS_3hip11IndexGlobalILNS_9named_dimE0ELi256ELi0EEENS7_40AvoidDeviceMaxThreadOccupancyConcretizerINS7_34FractionOffsetOccupancyConcretizerINS_8FractionImLm1ELm1EEELln1EEEEELb1EEENS_9Iterators16numeric_iteratorIllPlEEZN8rajaperf9algorithm10REDUCE_SUM17runHipVariantRAJAILm256ENSM_13gpu_algorithm19block_atomic_helperENSM_11gpu_mapping20global_direct_helperEEEvNSM_9VariantIDEEUllE_lNS_4expt15ForallParamPackIJEEES6_SA_TnNSt9enable_ifIXaasr3std10is_base_ofINS5_10DirectBaseET4_EE5valuegtsrT5_10block_sizeLi0EEmE4typeELm256EEEvT1_T0_T2_T3_
	.p2align	8
	.type	_ZN4RAJA6policy3hip4impl18forallp_hip_kernelINS1_8hip_execINS_17iteration_mapping6DirectENS_3hip11IndexGlobalILNS_9named_dimE0ELi256ELi0EEENS7_40AvoidDeviceMaxThreadOccupancyConcretizerINS7_34FractionOffsetOccupancyConcretizerINS_8FractionImLm1ELm1EEELln1EEEEELb1EEENS_9Iterators16numeric_iteratorIllPlEEZN8rajaperf9algorithm10REDUCE_SUM17runHipVariantRAJAILm256ENSM_13gpu_algorithm19block_atomic_helperENSM_11gpu_mapping20global_direct_helperEEEvNSM_9VariantIDEEUllE_lNS_4expt15ForallParamPackIJEEES6_SA_TnNSt9enable_ifIXaasr3std10is_base_ofINS5_10DirectBaseET4_EE5valuegtsrT5_10block_sizeLi0EEmE4typeELm256EEEvT1_T0_T2_T3_,@function
_ZN4RAJA6policy3hip4impl18forallp_hip_kernelINS1_8hip_execINS_17iteration_mapping6DirectENS_3hip11IndexGlobalILNS_9named_dimE0ELi256ELi0EEENS7_40AvoidDeviceMaxThreadOccupancyConcretizerINS7_34FractionOffsetOccupancyConcretizerINS_8FractionImLm1ELm1EEELln1EEEEELb1EEENS_9Iterators16numeric_iteratorIllPlEEZN8rajaperf9algorithm10REDUCE_SUM17runHipVariantRAJAILm256ENSM_13gpu_algorithm19block_atomic_helperENSM_11gpu_mapping20global_direct_helperEEEvNSM_9VariantIDEEUllE_lNS_4expt15ForallParamPackIJEEES6_SA_TnNSt9enable_ifIXaasr3std10is_base_ofINS5_10DirectBaseET4_EE5valuegtsrT5_10block_sizeLi0EEmE4typeELm256EEEvT1_T0_T2_T3_: ; @_ZN4RAJA6policy3hip4impl18forallp_hip_kernelINS1_8hip_execINS_17iteration_mapping6DirectENS_3hip11IndexGlobalILNS_9named_dimE0ELi256ELi0EEENS7_40AvoidDeviceMaxThreadOccupancyConcretizerINS7_34FractionOffsetOccupancyConcretizerINS_8FractionImLm1ELm1EEELln1EEEEELb1EEENS_9Iterators16numeric_iteratorIllPlEEZN8rajaperf9algorithm10REDUCE_SUM17runHipVariantRAJAILm256ENSM_13gpu_algorithm19block_atomic_helperENSM_11gpu_mapping20global_direct_helperEEEvNSM_9VariantIDEEUllE_lNS_4expt15ForallParamPackIJEEES6_SA_TnNSt9enable_ifIXaasr3std10is_base_ofINS5_10DirectBaseET4_EE5valuegtsrT5_10block_sizeLi0EEmE4typeELm256EEEvT1_T0_T2_T3_
; %bb.0:
	s_mov_b32 s2, s13
	s_clause 0x2
	s_load_b128 s[8:11], s[0:1], 0x30
	s_load_b64 s[12:13], s[0:1], 0x18
	s_load_b128 s[4:7], s[0:1], 0x0
	s_mov_b32 s3, 0
	s_delay_alu instid0(SALU_CYCLE_1) | instskip(NEXT) | instid1(SALU_CYCLE_1)
	s_lshl_b64 s[16:17], s[2:3], 8
	v_dual_mov_b32 v4, s17 :: v_dual_and_b32 v5, 0x3ff, v0
	s_mov_b32 s3, exec_lo
	s_delay_alu instid0(VALU_DEP_1) | instskip(SKIP_2) | instid1(VALU_DEP_2)
	v_or_b32_e32 v3, s16, v5
	s_waitcnt lgkmcnt(0)
	v_dual_mov_b32 v1, s12 :: v_dual_mov_b32 v2, s13
	v_cmpx_gt_i64_e64 s[10:11], v[3:4]
	s_cbranch_execz .LBB11_2
; %bb.1:
	s_load_b64 s[10:11], s[0:1], 0x28
	v_lshlrev_b64 v[1:2], 3, v[3:4]
	s_lshl_b64 s[8:9], s[8:9], 3
	s_waitcnt lgkmcnt(0)
	s_add_u32 s8, s8, s10
	s_addc_u32 s9, s9, s11
	s_delay_alu instid0(VALU_DEP_1)
	v_add_co_u32 v1, vcc_lo, s8, v1
	v_add_co_ci_u32_e32 v2, vcc_lo, s9, v2, vcc_lo
	global_load_b64 v[1:2], v[1:2], off
	s_waitcnt vmcnt(0)
	v_add_f64 v[1:2], s[12:13], v[1:2]
.LBB11_2:
	s_or_b32 exec_lo, exec_lo, s3
	s_cmp_lg_u64 s[4:5], 0
	s_cbranch_scc1 .LBB11_17
; %bb.3:
	s_load_b64 s[4:5], s[0:1], 0x48
	v_mov_b32_e32 v3, 0
	s_add_u32 s3, s0, 0x48
	s_addc_u32 s8, s1, 0
	s_mov_b32 s9, 0
	global_load_b32 v4, v3, s[0:1] offset:86
	s_waitcnt lgkmcnt(0)
	s_cmp_lt_u32 s2, s4
	s_cselect_b32 s0, 12, 18
	s_delay_alu instid0(SALU_CYCLE_1)
	s_add_u32 s0, s3, s0
	s_addc_u32 s1, s8, 0
	global_load_u16 v3, v3, s[0:1]
	s_waitcnt vmcnt(1)
	v_readfirstlane_b32 s0, v4
	v_bfe_u32 v4, v0, 20, 10
	v_bfe_u32 v0, v0, 10, 10
	s_delay_alu instid0(VALU_DEP_3) | instskip(SKIP_4) | instid1(VALU_DEP_2)
	s_and_b32 s3, s0, 0xffff
	s_lshr_b32 s0, s0, 16
	s_waitcnt vmcnt(0)
	v_readfirstlane_b32 s1, v3
	v_mad_u32_u24 v3, v0, v3, v5
	s_mul_i32 s1, s3, s1
	s_mov_b32 s3, -1
	v_mul_lo_u32 v6, s1, v4
	s_mul_i32 s0, s1, s0
	s_delay_alu instid0(SALU_CYCLE_1) | instskip(SKIP_2) | instid1(VALU_DEP_1)
	s_and_b32 s8, s0, 63
	s_ashr_i32 s1, s0, 31
	s_cmp_eq_u64 s[8:9], 0
	v_add_nc_u32_e32 v7, v6, v3
	s_delay_alu instid0(VALU_DEP_1)
	v_ashrrev_i32_e32 v8, 31, v7
	s_cbranch_scc1 .LBB11_18
; %bb.4:
	v_xor_b32_e32 v0, 1, v7
	s_delay_alu instid0(VALU_DEP_1) | instskip(SKIP_1) | instid1(VALU_DEP_1)
	v_cmp_gt_i32_e32 vcc_lo, s0, v0
	v_and_b32_e32 v4, 31, v0
	v_lshlrev_b32_e32 v4, 2, v4
	ds_bpermute_b32 v5, v4, v2
	ds_bpermute_b32 v4, v4, v1
	s_waitcnt lgkmcnt(1)
	v_and_b32_e32 v9, 0xff, v5
	v_and_b32_e32 v10, 0xff00, v5
	v_and_b32_e32 v11, 0xff0000, v5
	v_and_b32_e32 v5, 0xff000000, v5
	s_waitcnt lgkmcnt(0)
	v_or3_b32 v4, v4, 0, 0
	v_or_b32_e32 v9, v9, v10
	s_delay_alu instid0(VALU_DEP_1) | instskip(SKIP_1) | instid1(VALU_DEP_2)
	v_or3_b32 v5, v9, v11, v5
	v_xor_b32_e32 v11, 2, v7
	v_add_f64 v[4:5], v[1:2], v[4:5]
	s_delay_alu instid0(VALU_DEP_2) | instskip(NEXT) | instid1(VALU_DEP_1)
	v_and_b32_e32 v9, 31, v11
	v_dual_cndmask_b32 v4, v1, v4 :: v_dual_lshlrev_b32 v9, 2, v9
	s_delay_alu instid0(VALU_DEP_3)
	v_cndmask_b32_e32 v5, v2, v5, vcc_lo
	v_cmp_gt_i32_e32 vcc_lo, s0, v11
	ds_bpermute_b32 v0, v9, v5
	ds_bpermute_b32 v9, v9, v4
	s_waitcnt lgkmcnt(1)
	v_and_b32_e32 v10, 0xff, v0
	v_and_b32_e32 v12, 0xff00, v0
	v_and_b32_e32 v13, 0xff0000, v0
	v_and_b32_e32 v0, 0xff000000, v0
	s_waitcnt lgkmcnt(0)
	v_or3_b32 v9, v9, 0, 0
	v_or_b32_e32 v10, v10, v12
	s_delay_alu instid0(VALU_DEP_1) | instskip(SKIP_1) | instid1(VALU_DEP_2)
	v_or3_b32 v10, v10, v13, v0
	v_xor_b32_e32 v0, 4, v7
	v_add_f64 v[9:10], v[4:5], v[9:10]
	s_delay_alu instid0(VALU_DEP_2) | instskip(NEXT) | instid1(VALU_DEP_1)
	v_and_b32_e32 v12, 31, v0
	v_dual_cndmask_b32 v5, v5, v10 :: v_dual_lshlrev_b32 v12, 2, v12
	s_delay_alu instid0(VALU_DEP_3)
	v_cndmask_b32_e32 v4, v4, v9, vcc_lo
	v_cmp_gt_i32_e32 vcc_lo, s0, v0
	;; [unrolled: 20-line block ×4, first 2 shown]
	ds_bpermute_b32 v10, v12, v5
	ds_bpermute_b32 v9, v12, v4
	s_waitcnt lgkmcnt(1)
	v_and_b32_e32 v11, 0xff, v10
	v_and_b32_e32 v12, 0xff00, v10
	;; [unrolled: 1-line block ×4, first 2 shown]
	s_waitcnt lgkmcnt(0)
	v_or3_b32 v9, v9, 0, 0
	v_or_b32_e32 v11, v11, v12
	s_delay_alu instid0(VALU_DEP_1) | instskip(SKIP_1) | instid1(VALU_DEP_2)
	v_or3_b32 v10, v11, v13, v10
	v_and_b32_e32 v11, 31, v7
	v_add_f64 v[9:10], v[4:5], v[9:10]
	s_delay_alu instid0(VALU_DEP_2) | instskip(NEXT) | instid1(VALU_DEP_2)
	v_lshlrev_b32_e32 v11, 2, v11
	v_dual_cndmask_b32 v5, v5, v10 :: v_dual_cndmask_b32 v4, v4, v9
	ds_bpermute_b32 v0, v11, v5
	ds_bpermute_b32 v9, v11, v4
	s_waitcnt lgkmcnt(1)
	v_and_b32_e32 v10, 0xff, v0
	v_and_b32_e32 v11, 0xff00, v0
	;; [unrolled: 1-line block ×4, first 2 shown]
	s_waitcnt lgkmcnt(0)
	v_or3_b32 v9, v9, 0, 0
	v_or_b32_e32 v10, v10, v11
	s_delay_alu instid0(VALU_DEP_1) | instskip(SKIP_1) | instid1(VALU_DEP_2)
	v_or3_b32 v10, v10, v12, v0
	v_xor_b32_e32 v0, 32, v7
	v_add_f64 v[9:10], v[4:5], v[9:10]
	s_delay_alu instid0(VALU_DEP_2) | instskip(NEXT) | instid1(VALU_DEP_2)
	v_cmp_gt_i32_e32 vcc_lo, s0, v0
	v_dual_cndmask_b32 v4, v4, v9 :: v_dual_cndmask_b32 v5, v5, v10
	v_mbcnt_lo_u32_b32 v9, -1, 0
	s_cbranch_execnz .LBB11_6
.LBB11_5:
	s_delay_alu instid0(VALU_DEP_1) | instskip(NEXT) | instid1(VALU_DEP_1)
	v_xor_b32_e32 v0, 1, v9
	v_cmp_gt_i32_e32 vcc_lo, 32, v0
	v_cndmask_b32_e32 v0, v9, v0, vcc_lo
	s_delay_alu instid0(VALU_DEP_1)
	v_lshlrev_b32_e32 v0, 2, v0
	ds_bpermute_b32 v4, v0, v2
	ds_bpermute_b32 v0, v0, v1
	s_waitcnt lgkmcnt(1)
	v_and_b32_e32 v5, 0xff, v4
	v_and_b32_e32 v10, 0xff00, v4
	;; [unrolled: 1-line block ×4, first 2 shown]
	s_waitcnt lgkmcnt(0)
	v_or3_b32 v4, v0, 0, 0
	v_or_b32_e32 v5, v5, v10
	s_delay_alu instid0(VALU_DEP_1) | instskip(NEXT) | instid1(VALU_DEP_1)
	v_or3_b32 v5, v5, v11, v12
	v_add_f64 v[0:1], v[1:2], v[4:5]
	v_xor_b32_e32 v2, 2, v9
	s_delay_alu instid0(VALU_DEP_1) | instskip(SKIP_1) | instid1(VALU_DEP_1)
	v_cmp_gt_i32_e32 vcc_lo, 32, v2
	v_cndmask_b32_e32 v2, v9, v2, vcc_lo
	v_lshlrev_b32_e32 v2, 2, v2
	ds_bpermute_b32 v4, v2, v1
	ds_bpermute_b32 v2, v2, v0
	s_waitcnt lgkmcnt(1)
	v_and_b32_e32 v5, 0xff, v4
	v_and_b32_e32 v10, 0xff00, v4
	v_and_b32_e32 v11, 0xff0000, v4
	v_and_b32_e32 v12, 0xff000000, v4
	s_waitcnt lgkmcnt(0)
	v_or3_b32 v4, v2, 0, 0
	v_xor_b32_e32 v2, 4, v9
	v_or_b32_e32 v5, v5, v10
	s_delay_alu instid0(VALU_DEP_2) | instskip(NEXT) | instid1(VALU_DEP_2)
	v_cmp_gt_i32_e32 vcc_lo, 32, v2
	v_or3_b32 v5, v5, v11, v12
	v_cndmask_b32_e32 v2, v9, v2, vcc_lo
	s_delay_alu instid0(VALU_DEP_2) | instskip(NEXT) | instid1(VALU_DEP_2)
	v_add_f64 v[0:1], v[0:1], v[4:5]
	v_lshlrev_b32_e32 v2, 2, v2
	ds_bpermute_b32 v4, v2, v1
	ds_bpermute_b32 v2, v2, v0
	s_waitcnt lgkmcnt(1)
	v_and_b32_e32 v5, 0xff, v4
	v_and_b32_e32 v10, 0xff00, v4
	v_and_b32_e32 v11, 0xff0000, v4
	v_and_b32_e32 v12, 0xff000000, v4
	s_waitcnt lgkmcnt(0)
	v_or3_b32 v4, v2, 0, 0
	v_xor_b32_e32 v2, 8, v9
	v_or_b32_e32 v5, v5, v10
	s_delay_alu instid0(VALU_DEP_2) | instskip(NEXT) | instid1(VALU_DEP_2)
	v_cmp_gt_i32_e32 vcc_lo, 32, v2
	v_or3_b32 v5, v5, v11, v12
	v_cndmask_b32_e32 v2, v9, v2, vcc_lo
	s_delay_alu instid0(VALU_DEP_2) | instskip(NEXT) | instid1(VALU_DEP_2)
	v_add_f64 v[0:1], v[0:1], v[4:5]
	;; [unrolled: 18-line block ×3, first 2 shown]
	v_lshlrev_b32_e32 v2, 2, v2
	ds_bpermute_b32 v4, v2, v1
	ds_bpermute_b32 v2, v2, v0
	s_waitcnt lgkmcnt(1)
	v_and_b32_e32 v5, 0xff, v4
	v_and_b32_e32 v10, 0xff00, v4
	v_and_b32_e32 v11, 0xff0000, v4
	v_and_b32_e32 v12, 0xff000000, v4
	s_waitcnt lgkmcnt(0)
	v_or3_b32 v4, v2, 0, 0
	v_or_b32_e32 v2, 32, v9
	v_or_b32_e32 v5, v5, v10
	s_delay_alu instid0(VALU_DEP_2) | instskip(NEXT) | instid1(VALU_DEP_2)
	v_cmp_gt_i32_e32 vcc_lo, 32, v2
	v_or3_b32 v5, v5, v11, v12
	v_cndmask_b32_e32 v2, v9, v2, vcc_lo
	s_delay_alu instid0(VALU_DEP_2) | instskip(NEXT) | instid1(VALU_DEP_2)
	v_add_f64 v[0:1], v[0:1], v[4:5]
	v_lshlrev_b32_e32 v2, 2, v2
	ds_bpermute_b32 v4, v2, v1
	ds_bpermute_b32 v2, v2, v0
	s_waitcnt lgkmcnt(1)
	v_and_b32_e32 v5, 0xff, v4
	v_and_b32_e32 v10, 0xff00, v4
	;; [unrolled: 1-line block ×4, first 2 shown]
	s_delay_alu instid0(VALU_DEP_3) | instskip(NEXT) | instid1(VALU_DEP_1)
	v_or_b32_e32 v5, v5, v10
	v_or3_b32 v5, v5, v11, v4
	s_waitcnt lgkmcnt(0)
	v_or3_b32 v4, v2, 0, 0
	s_delay_alu instid0(VALU_DEP_1)
	v_add_f64 v[4:5], v[0:1], v[4:5]
.LBB11_6:
	s_cmpk_lt_i32 s0, 0x41
	s_cbranch_scc1 .LBB11_14
; %bb.7:
	v_lshrrev_b32_e32 v0, 26, v8
	s_mov_b32 s3, exec_lo
	s_delay_alu instid0(VALU_DEP_1) | instskip(NEXT) | instid1(VALU_DEP_1)
	v_add_nc_u32_e32 v1, v7, v0
	v_and_b32_e32 v0, 0xffffffc0, v1
	s_delay_alu instid0(VALU_DEP_1) | instskip(NEXT) | instid1(VALU_DEP_1)
	v_sub_nc_u32_e32 v0, v7, v0
	v_cmpx_eq_u32_e32 0, v0
	s_cbranch_execz .LBB11_9
; %bb.8:
	v_ashrrev_i32_e32 v1, 6, v1
	s_delay_alu instid0(VALU_DEP_1)
	v_lshlrev_b32_e32 v1, 3, v1
	ds_store_b64 v1, v[4:5]
.LBB11_9:
	s_or_b32 exec_lo, exec_lo, s3
	v_add_co_u32 v1, vcc_lo, v7, 63
	v_add_co_ci_u32_e32 v2, vcc_lo, 0, v8, vcc_lo
	s_mov_b32 s3, exec_lo
	s_waitcnt lgkmcnt(0)
	s_barrier
	buffer_gl0_inv
	v_cmpx_gt_u64_e32 0x7f, v[1:2]
	s_cbranch_execz .LBB11_13
; %bb.10:
	v_ashrrev_i32_e32 v1, 31, v0
	s_delay_alu instid0(VALU_DEP_1) | instskip(NEXT) | instid1(VALU_DEP_1)
	v_lshlrev_b64 v[1:2], 6, v[0:1]
	v_cmp_gt_i64_e32 vcc_lo, s[0:1], v[1:2]
	v_dual_mov_b32 v1, s12 :: v_dual_mov_b32 v2, s13
	s_and_saveexec_b32 s0, vcc_lo
	s_cbranch_execz .LBB11_12
; %bb.11:
	v_lshlrev_b32_e32 v0, 3, v0
	ds_load_b64 v[1:2], v0
.LBB11_12:
	s_or_b32 exec_lo, exec_lo, s0
	v_xor_b32_e32 v0, 1, v9
	s_delay_alu instid0(VALU_DEP_1) | instskip(SKIP_1) | instid1(VALU_DEP_1)
	v_cmp_gt_i32_e32 vcc_lo, 32, v0
	v_cndmask_b32_e32 v0, v9, v0, vcc_lo
	v_lshlrev_b32_e32 v0, 2, v0
	s_waitcnt lgkmcnt(0)
	ds_bpermute_b32 v4, v0, v2
	ds_bpermute_b32 v0, v0, v1
	s_waitcnt lgkmcnt(1)
	v_and_b32_e32 v5, 0xff, v4
	v_and_b32_e32 v7, 0xff00, v4
	;; [unrolled: 1-line block ×4, first 2 shown]
	s_waitcnt lgkmcnt(0)
	v_or3_b32 v4, v0, 0, 0
	v_or_b32_e32 v5, v5, v7
	s_delay_alu instid0(VALU_DEP_1) | instskip(NEXT) | instid1(VALU_DEP_1)
	v_or3_b32 v5, v5, v8, v10
	v_add_f64 v[0:1], v[1:2], v[4:5]
	v_xor_b32_e32 v2, 2, v9
	s_delay_alu instid0(VALU_DEP_1) | instskip(SKIP_1) | instid1(VALU_DEP_1)
	v_cmp_gt_i32_e32 vcc_lo, 32, v2
	v_cndmask_b32_e32 v2, v9, v2, vcc_lo
	v_lshlrev_b32_e32 v2, 2, v2
	ds_bpermute_b32 v4, v2, v1
	ds_bpermute_b32 v2, v2, v0
	s_waitcnt lgkmcnt(1)
	v_and_b32_e32 v5, 0xff, v4
	v_and_b32_e32 v7, 0xff00, v4
	;; [unrolled: 1-line block ×4, first 2 shown]
	s_waitcnt lgkmcnt(0)
	v_or3_b32 v4, v2, 0, 0
	v_xor_b32_e32 v2, 4, v9
	v_or_b32_e32 v5, v5, v7
	s_delay_alu instid0(VALU_DEP_2) | instskip(NEXT) | instid1(VALU_DEP_2)
	v_cmp_gt_i32_e32 vcc_lo, 32, v2
	v_or3_b32 v5, v5, v8, v10
	v_cndmask_b32_e32 v2, v9, v2, vcc_lo
	s_delay_alu instid0(VALU_DEP_2) | instskip(NEXT) | instid1(VALU_DEP_2)
	v_add_f64 v[0:1], v[0:1], v[4:5]
	v_lshlrev_b32_e32 v2, 2, v2
	ds_bpermute_b32 v4, v2, v1
	ds_bpermute_b32 v2, v2, v0
	s_waitcnt lgkmcnt(1)
	v_and_b32_e32 v5, 0xff, v4
	v_and_b32_e32 v7, 0xff00, v4
	;; [unrolled: 1-line block ×4, first 2 shown]
	s_waitcnt lgkmcnt(0)
	v_or3_b32 v4, v2, 0, 0
	v_xor_b32_e32 v2, 8, v9
	v_or_b32_e32 v5, v5, v7
	s_delay_alu instid0(VALU_DEP_2) | instskip(NEXT) | instid1(VALU_DEP_2)
	v_cmp_gt_i32_e32 vcc_lo, 32, v2
	v_or3_b32 v5, v5, v8, v10
	v_cndmask_b32_e32 v2, v9, v2, vcc_lo
	s_delay_alu instid0(VALU_DEP_2) | instskip(NEXT) | instid1(VALU_DEP_2)
	v_add_f64 v[0:1], v[0:1], v[4:5]
	v_lshlrev_b32_e32 v2, 2, v2
	ds_bpermute_b32 v4, v2, v1
	ds_bpermute_b32 v2, v2, v0
	s_waitcnt lgkmcnt(1)
	v_and_b32_e32 v5, 0xff, v4
	v_and_b32_e32 v7, 0xff00, v4
	;; [unrolled: 1-line block ×4, first 2 shown]
	s_delay_alu instid0(VALU_DEP_3) | instskip(NEXT) | instid1(VALU_DEP_1)
	v_or_b32_e32 v5, v5, v7
	v_or3_b32 v5, v5, v8, v4
	s_waitcnt lgkmcnt(0)
	v_or3_b32 v4, v2, 0, 0
	s_delay_alu instid0(VALU_DEP_1)
	v_add_f64 v[4:5], v[0:1], v[4:5]
.LBB11_13:
	s_or_b32 exec_lo, exec_lo, s3
	s_barrier
	buffer_gl0_inv
.LBB11_14:
	s_delay_alu instid0(VALU_DEP_1) | instskip(SKIP_2) | instid1(VALU_DEP_1)
	v_cmp_neq_f64_e32 vcc_lo, s[12:13], v[4:5]
	v_sub_nc_u32_e32 v0, 0, v6
	s_mov_b32 s1, 0
	v_cmp_eq_u32_e64 s0, v3, v0
	s_delay_alu instid0(VALU_DEP_1) | instskip(NEXT) | instid1(SALU_CYCLE_1)
	s_and_b32 s0, s0, vcc_lo
	s_and_saveexec_b32 s3, s0
	s_cbranch_execz .LBB11_17
; %bb.15:
	s_mul_i32 s0, s5, s15
	s_delay_alu instid0(SALU_CYCLE_1) | instskip(NEXT) | instid1(SALU_CYCLE_1)
	s_add_i32 s0, s0, s14
	s_mul_i32 s0, s0, s4
	s_delay_alu instid0(SALU_CYCLE_1) | instskip(NEXT) | instid1(SALU_CYCLE_1)
	s_add_i32 s0, s0, s2
	s_ashr_i32 s2, s0, 31
	s_delay_alu instid0(SALU_CYCLE_1) | instskip(NEXT) | instid1(SALU_CYCLE_1)
	s_lshr_b32 s2, s2, 27
	s_add_i32 s2, s0, s2
	s_delay_alu instid0(SALU_CYCLE_1) | instskip(NEXT) | instid1(SALU_CYCLE_1)
	s_and_b32 s2, s2, 0x1fffffe0
	s_sub_i32 s0, s0, s2
	s_delay_alu instid0(SALU_CYCLE_1) | instskip(NEXT) | instid1(SALU_CYCLE_1)
	s_lshl_b32 s2, s0, 3
	s_ashr_i32 s3, s2, 31
	s_delay_alu instid0(SALU_CYCLE_1) | instskip(NEXT) | instid1(SALU_CYCLE_1)
	s_lshl_b64 s[2:3], s[2:3], 3
	s_add_u32 s2, s6, s2
	s_addc_u32 s3, s7, s3
	s_delay_alu instid0(SALU_CYCLE_1)
	v_dual_mov_b32 v7, s3 :: v_dual_mov_b32 v6, s2
	flat_load_b64 v[2:3], v[6:7]
.LBB11_16:                              ; =>This Inner Loop Header: Depth=1
	s_waitcnt vmcnt(0) lgkmcnt(0)
	v_add_f64 v[0:1], v[2:3], v[4:5]
	flat_atomic_cmpswap_b64 v[0:1], v[6:7], v[0:3] glc
	s_waitcnt vmcnt(0) lgkmcnt(0)
	v_cmp_eq_u64_e32 vcc_lo, v[0:1], v[2:3]
	v_dual_mov_b32 v3, v1 :: v_dual_mov_b32 v2, v0
	s_or_b32 s1, vcc_lo, s1
	s_delay_alu instid0(SALU_CYCLE_1)
	s_and_not1_b32 exec_lo, exec_lo, s1
	s_cbranch_execnz .LBB11_16
.LBB11_17:
	s_endpgm
.LBB11_18:
                                        ; implicit-def: $vgpr4_vgpr5
	v_mbcnt_lo_u32_b32 v9, -1, 0
	s_and_not1_b32 vcc_lo, exec_lo, s3
	s_cbranch_vccz .LBB11_5
	s_branch .LBB11_6
	.section	.rodata,"a",@progbits
	.p2align	6, 0x0
	.amdhsa_kernel _ZN4RAJA6policy3hip4impl18forallp_hip_kernelINS1_8hip_execINS_17iteration_mapping6DirectENS_3hip11IndexGlobalILNS_9named_dimE0ELi256ELi0EEENS7_40AvoidDeviceMaxThreadOccupancyConcretizerINS7_34FractionOffsetOccupancyConcretizerINS_8FractionImLm1ELm1EEELln1EEEEELb1EEENS_9Iterators16numeric_iteratorIllPlEEZN8rajaperf9algorithm10REDUCE_SUM17runHipVariantRAJAILm256ENSM_13gpu_algorithm19block_atomic_helperENSM_11gpu_mapping20global_direct_helperEEEvNSM_9VariantIDEEUllE_lNS_4expt15ForallParamPackIJEEES6_SA_TnNSt9enable_ifIXaasr3std10is_base_ofINS5_10DirectBaseET4_EE5valuegtsrT5_10block_sizeLi0EEmE4typeELm256EEEvT1_T0_T2_T3_
		.amdhsa_group_segment_fixed_size 128
		.amdhsa_private_segment_fixed_size 0
		.amdhsa_kernarg_size 328
		.amdhsa_user_sgpr_count 13
		.amdhsa_user_sgpr_dispatch_ptr 0
		.amdhsa_user_sgpr_queue_ptr 0
		.amdhsa_user_sgpr_kernarg_segment_ptr 1
		.amdhsa_user_sgpr_dispatch_id 0
		.amdhsa_user_sgpr_private_segment_size 0
		.amdhsa_wavefront_size32 1
		.amdhsa_uses_dynamic_stack 0
		.amdhsa_enable_private_segment 0
		.amdhsa_system_sgpr_workgroup_id_x 1
		.amdhsa_system_sgpr_workgroup_id_y 1
		.amdhsa_system_sgpr_workgroup_id_z 1
		.amdhsa_system_sgpr_workgroup_info 0
		.amdhsa_system_vgpr_workitem_id 2
		.amdhsa_next_free_vgpr 14
		.amdhsa_next_free_sgpr 18
		.amdhsa_reserve_vcc 1
		.amdhsa_float_round_mode_32 0
		.amdhsa_float_round_mode_16_64 0
		.amdhsa_float_denorm_mode_32 3
		.amdhsa_float_denorm_mode_16_64 3
		.amdhsa_dx10_clamp 1
		.amdhsa_ieee_mode 1
		.amdhsa_fp16_overflow 0
		.amdhsa_workgroup_processor_mode 1
		.amdhsa_memory_ordered 1
		.amdhsa_forward_progress 0
		.amdhsa_shared_vgpr_count 0
		.amdhsa_exception_fp_ieee_invalid_op 0
		.amdhsa_exception_fp_denorm_src 0
		.amdhsa_exception_fp_ieee_div_zero 0
		.amdhsa_exception_fp_ieee_overflow 0
		.amdhsa_exception_fp_ieee_underflow 0
		.amdhsa_exception_fp_ieee_inexact 0
		.amdhsa_exception_int_div_zero 0
	.end_amdhsa_kernel
	.section	.text._ZN4RAJA6policy3hip4impl18forallp_hip_kernelINS1_8hip_execINS_17iteration_mapping6DirectENS_3hip11IndexGlobalILNS_9named_dimE0ELi256ELi0EEENS7_40AvoidDeviceMaxThreadOccupancyConcretizerINS7_34FractionOffsetOccupancyConcretizerINS_8FractionImLm1ELm1EEELln1EEEEELb1EEENS_9Iterators16numeric_iteratorIllPlEEZN8rajaperf9algorithm10REDUCE_SUM17runHipVariantRAJAILm256ENSM_13gpu_algorithm19block_atomic_helperENSM_11gpu_mapping20global_direct_helperEEEvNSM_9VariantIDEEUllE_lNS_4expt15ForallParamPackIJEEES6_SA_TnNSt9enable_ifIXaasr3std10is_base_ofINS5_10DirectBaseET4_EE5valuegtsrT5_10block_sizeLi0EEmE4typeELm256EEEvT1_T0_T2_T3_,"axG",@progbits,_ZN4RAJA6policy3hip4impl18forallp_hip_kernelINS1_8hip_execINS_17iteration_mapping6DirectENS_3hip11IndexGlobalILNS_9named_dimE0ELi256ELi0EEENS7_40AvoidDeviceMaxThreadOccupancyConcretizerINS7_34FractionOffsetOccupancyConcretizerINS_8FractionImLm1ELm1EEELln1EEEEELb1EEENS_9Iterators16numeric_iteratorIllPlEEZN8rajaperf9algorithm10REDUCE_SUM17runHipVariantRAJAILm256ENSM_13gpu_algorithm19block_atomic_helperENSM_11gpu_mapping20global_direct_helperEEEvNSM_9VariantIDEEUllE_lNS_4expt15ForallParamPackIJEEES6_SA_TnNSt9enable_ifIXaasr3std10is_base_ofINS5_10DirectBaseET4_EE5valuegtsrT5_10block_sizeLi0EEmE4typeELm256EEEvT1_T0_T2_T3_,comdat
.Lfunc_end11:
	.size	_ZN4RAJA6policy3hip4impl18forallp_hip_kernelINS1_8hip_execINS_17iteration_mapping6DirectENS_3hip11IndexGlobalILNS_9named_dimE0ELi256ELi0EEENS7_40AvoidDeviceMaxThreadOccupancyConcretizerINS7_34FractionOffsetOccupancyConcretizerINS_8FractionImLm1ELm1EEELln1EEEEELb1EEENS_9Iterators16numeric_iteratorIllPlEEZN8rajaperf9algorithm10REDUCE_SUM17runHipVariantRAJAILm256ENSM_13gpu_algorithm19block_atomic_helperENSM_11gpu_mapping20global_direct_helperEEEvNSM_9VariantIDEEUllE_lNS_4expt15ForallParamPackIJEEES6_SA_TnNSt9enable_ifIXaasr3std10is_base_ofINS5_10DirectBaseET4_EE5valuegtsrT5_10block_sizeLi0EEmE4typeELm256EEEvT1_T0_T2_T3_, .Lfunc_end11-_ZN4RAJA6policy3hip4impl18forallp_hip_kernelINS1_8hip_execINS_17iteration_mapping6DirectENS_3hip11IndexGlobalILNS_9named_dimE0ELi256ELi0EEENS7_40AvoidDeviceMaxThreadOccupancyConcretizerINS7_34FractionOffsetOccupancyConcretizerINS_8FractionImLm1ELm1EEELln1EEEEELb1EEENS_9Iterators16numeric_iteratorIllPlEEZN8rajaperf9algorithm10REDUCE_SUM17runHipVariantRAJAILm256ENSM_13gpu_algorithm19block_atomic_helperENSM_11gpu_mapping20global_direct_helperEEEvNSM_9VariantIDEEUllE_lNS_4expt15ForallParamPackIJEEES6_SA_TnNSt9enable_ifIXaasr3std10is_base_ofINS5_10DirectBaseET4_EE5valuegtsrT5_10block_sizeLi0EEmE4typeELm256EEEvT1_T0_T2_T3_
                                        ; -- End function
	.section	.AMDGPU.csdata,"",@progbits
; Kernel info:
; codeLenInByte = 2576
; NumSgprs: 20
; NumVgprs: 14
; ScratchSize: 0
; MemoryBound: 0
; FloatMode: 240
; IeeeMode: 1
; LDSByteSize: 128 bytes/workgroup (compile time only)
; SGPRBlocks: 2
; VGPRBlocks: 1
; NumSGPRsForWavesPerEU: 20
; NumVGPRsForWavesPerEU: 14
; Occupancy: 16
; WaveLimiterHint : 0
; COMPUTE_PGM_RSRC2:SCRATCH_EN: 0
; COMPUTE_PGM_RSRC2:USER_SGPR: 13
; COMPUTE_PGM_RSRC2:TRAP_HANDLER: 0
; COMPUTE_PGM_RSRC2:TGID_X_EN: 1
; COMPUTE_PGM_RSRC2:TGID_Y_EN: 1
; COMPUTE_PGM_RSRC2:TGID_Z_EN: 1
; COMPUTE_PGM_RSRC2:TIDIG_COMP_CNT: 2
	.section	.text._ZN4RAJA6policy3hip4impl18forallp_hip_kernelINS1_8hip_execINS_17iteration_mapping6DirectENS_3hip11IndexGlobalILNS_9named_dimE0ELi256ELi0EEENS7_40AvoidDeviceMaxThreadOccupancyConcretizerINS7_34FractionOffsetOccupancyConcretizerINS_8FractionImLm1ELm1EEELln1EEEEELb1EEENS_9Iterators16numeric_iteratorIllPlEEZN8rajaperf9algorithm10REDUCE_SUM17runHipVariantRAJAILm256ENSM_13gpu_algorithm19block_device_helperENSM_11gpu_mapping20global_direct_helperEEEvNSM_9VariantIDEEUllE_lNS_4expt15ForallParamPackIJEEES6_SA_TnNSt9enable_ifIXaasr3std10is_base_ofINS5_10DirectBaseET4_EE5valuegtsrT5_10block_sizeLi0EEmE4typeELm256EEEvT1_T0_T2_T3_,"axG",@progbits,_ZN4RAJA6policy3hip4impl18forallp_hip_kernelINS1_8hip_execINS_17iteration_mapping6DirectENS_3hip11IndexGlobalILNS_9named_dimE0ELi256ELi0EEENS7_40AvoidDeviceMaxThreadOccupancyConcretizerINS7_34FractionOffsetOccupancyConcretizerINS_8FractionImLm1ELm1EEELln1EEEEELb1EEENS_9Iterators16numeric_iteratorIllPlEEZN8rajaperf9algorithm10REDUCE_SUM17runHipVariantRAJAILm256ENSM_13gpu_algorithm19block_device_helperENSM_11gpu_mapping20global_direct_helperEEEvNSM_9VariantIDEEUllE_lNS_4expt15ForallParamPackIJEEES6_SA_TnNSt9enable_ifIXaasr3std10is_base_ofINS5_10DirectBaseET4_EE5valuegtsrT5_10block_sizeLi0EEmE4typeELm256EEEvT1_T0_T2_T3_,comdat
	.protected	_ZN4RAJA6policy3hip4impl18forallp_hip_kernelINS1_8hip_execINS_17iteration_mapping6DirectENS_3hip11IndexGlobalILNS_9named_dimE0ELi256ELi0EEENS7_40AvoidDeviceMaxThreadOccupancyConcretizerINS7_34FractionOffsetOccupancyConcretizerINS_8FractionImLm1ELm1EEELln1EEEEELb1EEENS_9Iterators16numeric_iteratorIllPlEEZN8rajaperf9algorithm10REDUCE_SUM17runHipVariantRAJAILm256ENSM_13gpu_algorithm19block_device_helperENSM_11gpu_mapping20global_direct_helperEEEvNSM_9VariantIDEEUllE_lNS_4expt15ForallParamPackIJEEES6_SA_TnNSt9enable_ifIXaasr3std10is_base_ofINS5_10DirectBaseET4_EE5valuegtsrT5_10block_sizeLi0EEmE4typeELm256EEEvT1_T0_T2_T3_ ; -- Begin function _ZN4RAJA6policy3hip4impl18forallp_hip_kernelINS1_8hip_execINS_17iteration_mapping6DirectENS_3hip11IndexGlobalILNS_9named_dimE0ELi256ELi0EEENS7_40AvoidDeviceMaxThreadOccupancyConcretizerINS7_34FractionOffsetOccupancyConcretizerINS_8FractionImLm1ELm1EEELln1EEEEELb1EEENS_9Iterators16numeric_iteratorIllPlEEZN8rajaperf9algorithm10REDUCE_SUM17runHipVariantRAJAILm256ENSM_13gpu_algorithm19block_device_helperENSM_11gpu_mapping20global_direct_helperEEEvNSM_9VariantIDEEUllE_lNS_4expt15ForallParamPackIJEEES6_SA_TnNSt9enable_ifIXaasr3std10is_base_ofINS5_10DirectBaseET4_EE5valuegtsrT5_10block_sizeLi0EEmE4typeELm256EEEvT1_T0_T2_T3_
	.globl	_ZN4RAJA6policy3hip4impl18forallp_hip_kernelINS1_8hip_execINS_17iteration_mapping6DirectENS_3hip11IndexGlobalILNS_9named_dimE0ELi256ELi0EEENS7_40AvoidDeviceMaxThreadOccupancyConcretizerINS7_34FractionOffsetOccupancyConcretizerINS_8FractionImLm1ELm1EEELln1EEEEELb1EEENS_9Iterators16numeric_iteratorIllPlEEZN8rajaperf9algorithm10REDUCE_SUM17runHipVariantRAJAILm256ENSM_13gpu_algorithm19block_device_helperENSM_11gpu_mapping20global_direct_helperEEEvNSM_9VariantIDEEUllE_lNS_4expt15ForallParamPackIJEEES6_SA_TnNSt9enable_ifIXaasr3std10is_base_ofINS5_10DirectBaseET4_EE5valuegtsrT5_10block_sizeLi0EEmE4typeELm256EEEvT1_T0_T2_T3_
	.p2align	8
	.type	_ZN4RAJA6policy3hip4impl18forallp_hip_kernelINS1_8hip_execINS_17iteration_mapping6DirectENS_3hip11IndexGlobalILNS_9named_dimE0ELi256ELi0EEENS7_40AvoidDeviceMaxThreadOccupancyConcretizerINS7_34FractionOffsetOccupancyConcretizerINS_8FractionImLm1ELm1EEELln1EEEEELb1EEENS_9Iterators16numeric_iteratorIllPlEEZN8rajaperf9algorithm10REDUCE_SUM17runHipVariantRAJAILm256ENSM_13gpu_algorithm19block_device_helperENSM_11gpu_mapping20global_direct_helperEEEvNSM_9VariantIDEEUllE_lNS_4expt15ForallParamPackIJEEES6_SA_TnNSt9enable_ifIXaasr3std10is_base_ofINS5_10DirectBaseET4_EE5valuegtsrT5_10block_sizeLi0EEmE4typeELm256EEEvT1_T0_T2_T3_,@function
_ZN4RAJA6policy3hip4impl18forallp_hip_kernelINS1_8hip_execINS_17iteration_mapping6DirectENS_3hip11IndexGlobalILNS_9named_dimE0ELi256ELi0EEENS7_40AvoidDeviceMaxThreadOccupancyConcretizerINS7_34FractionOffsetOccupancyConcretizerINS_8FractionImLm1ELm1EEELln1EEEEELb1EEENS_9Iterators16numeric_iteratorIllPlEEZN8rajaperf9algorithm10REDUCE_SUM17runHipVariantRAJAILm256ENSM_13gpu_algorithm19block_device_helperENSM_11gpu_mapping20global_direct_helperEEEvNSM_9VariantIDEEUllE_lNS_4expt15ForallParamPackIJEEES6_SA_TnNSt9enable_ifIXaasr3std10is_base_ofINS5_10DirectBaseET4_EE5valuegtsrT5_10block_sizeLi0EEmE4typeELm256EEEvT1_T0_T2_T3_: ; @_ZN4RAJA6policy3hip4impl18forallp_hip_kernelINS1_8hip_execINS_17iteration_mapping6DirectENS_3hip11IndexGlobalILNS_9named_dimE0ELi256ELi0EEENS7_40AvoidDeviceMaxThreadOccupancyConcretizerINS7_34FractionOffsetOccupancyConcretizerINS_8FractionImLm1ELm1EEELln1EEEEELb1EEENS_9Iterators16numeric_iteratorIllPlEEZN8rajaperf9algorithm10REDUCE_SUM17runHipVariantRAJAILm256ENSM_13gpu_algorithm19block_device_helperENSM_11gpu_mapping20global_direct_helperEEEvNSM_9VariantIDEEUllE_lNS_4expt15ForallParamPackIJEEES6_SA_TnNSt9enable_ifIXaasr3std10is_base_ofINS5_10DirectBaseET4_EE5valuegtsrT5_10block_sizeLi0EEmE4typeELm256EEEvT1_T0_T2_T3_
; %bb.0:
	s_clause 0x2
	s_load_b128 s[16:19], s[0:1], 0x40
	s_load_b128 s[8:11], s[0:1], 0x18
	s_load_b128 s[4:7], s[0:1], 0x0
	s_mov_b32 s12, s13
	s_mov_b32 s13, 0
	s_delay_alu instid0(SALU_CYCLE_1) | instskip(NEXT) | instid1(SALU_CYCLE_1)
	s_lshl_b64 s[2:3], s[12:13], 8
	v_dual_mov_b32 v4, s3 :: v_dual_and_b32 v5, 0x3ff, v0
	s_delay_alu instid0(VALU_DEP_1) | instskip(SKIP_3) | instid1(VALU_DEP_2)
	v_or_b32_e32 v3, s2, v5
	s_mov_b32 s2, exec_lo
	s_waitcnt lgkmcnt(0)
	v_dual_mov_b32 v1, s8 :: v_dual_mov_b32 v2, s9
	v_cmpx_gt_i64_e64 s[18:19], v[3:4]
	s_cbranch_execz .LBB12_2
; %bb.1:
	s_load_b64 s[18:19], s[0:1], 0x38
	v_lshlrev_b64 v[1:2], 3, v[3:4]
	s_lshl_b64 s[16:17], s[16:17], 3
	s_waitcnt lgkmcnt(0)
	s_add_u32 s3, s16, s18
	s_addc_u32 s13, s17, s19
	s_delay_alu instid0(VALU_DEP_1)
	v_add_co_u32 v1, vcc_lo, s3, v1
	v_add_co_ci_u32_e32 v2, vcc_lo, s13, v2, vcc_lo
	global_load_b64 v[1:2], v[1:2], off
	s_waitcnt vmcnt(0)
	v_add_f64 v[1:2], s[8:9], v[1:2]
.LBB12_2:
	s_or_b32 exec_lo, exec_lo, s2
	s_cmp_lg_u64 s[4:5], 0
	s_cbranch_scc0 .LBB12_4
.LBB12_3:
	s_endpgm
.LBB12_4:
	s_load_b64 s[4:5], s[0:1], 0x58
	v_mov_b32_e32 v3, 0
	s_add_u32 s2, s0, 0x58
	s_addc_u32 s3, s1, 0
	s_mov_b32 s17, 0
	s_mov_b32 s18, -1
	global_load_b32 v4, v3, s[0:1] offset:102
	s_waitcnt lgkmcnt(0)
	s_cmp_lt_u32 s12, s4
	s_cselect_b32 s13, 12, 18
	s_delay_alu instid0(SALU_CYCLE_1)
	s_add_u32 s2, s2, s13
	s_addc_u32 s3, s3, 0
	global_load_u16 v3, v3, s[2:3]
	s_waitcnt vmcnt(1)
	v_readfirstlane_b32 s2, v4
	v_bfe_u32 v4, v0, 20, 10
	v_bfe_u32 v0, v0, 10, 10
	s_delay_alu instid0(VALU_DEP_3) | instskip(SKIP_4) | instid1(VALU_DEP_2)
	s_and_b32 s13, s2, 0xffff
	s_lshr_b32 s2, s2, 16
	s_waitcnt vmcnt(0)
	v_readfirstlane_b32 s3, v3
	v_mul_u32_u24_e32 v0, v0, v3
	s_mul_i32 s3, s13, s3
	s_delay_alu instid0(SALU_CYCLE_1) | instskip(SKIP_1) | instid1(SALU_CYCLE_1)
	v_mul_lo_u32 v4, s3, v4
	s_mul_i32 s2, s3, s2
	s_and_b32 s16, s2, 63
	s_ashr_i32 s3, s2, 31
	s_cmp_lg_u64 s[16:17], 0
	s_cselect_b32 s13, -1, 0
	s_delay_alu instid0(VALU_DEP_1)
	v_add3_u32 v0, v0, v5, v4
	s_cmp_eq_u64 s[16:17], 0
	s_cbranch_scc1 .LBB12_40
; %bb.5:
	s_delay_alu instid0(VALU_DEP_1) | instskip(NEXT) | instid1(VALU_DEP_1)
	v_xor_b32_e32 v5, 1, v0
	v_cmp_gt_i32_e32 vcc_lo, s2, v5
	v_and_b32_e32 v3, 31, v5
	s_delay_alu instid0(VALU_DEP_1)
	v_lshlrev_b32_e32 v3, 2, v3
	ds_bpermute_b32 v4, v3, v2
	ds_bpermute_b32 v3, v3, v1
	s_waitcnt lgkmcnt(1)
	v_and_b32_e32 v6, 0xff, v4
	v_and_b32_e32 v7, 0xff00, v4
	;; [unrolled: 1-line block ×4, first 2 shown]
	s_waitcnt lgkmcnt(0)
	v_or3_b32 v3, v3, 0, 0
	v_or_b32_e32 v6, v6, v7
	v_xor_b32_e32 v7, 2, v0
	s_delay_alu instid0(VALU_DEP_2) | instskip(NEXT) | instid1(VALU_DEP_2)
	v_or3_b32 v4, v6, v8, v4
	v_and_b32_e32 v6, 31, v7
	s_delay_alu instid0(VALU_DEP_2) | instskip(NEXT) | instid1(VALU_DEP_2)
	v_add_f64 v[3:4], v[1:2], v[3:4]
	v_lshlrev_b32_e32 v6, 2, v6
	s_delay_alu instid0(VALU_DEP_2)
	v_dual_cndmask_b32 v4, v2, v4 :: v_dual_cndmask_b32 v3, v1, v3
	v_cmp_gt_i32_e32 vcc_lo, s2, v7
	ds_bpermute_b32 v5, v6, v4
	ds_bpermute_b32 v6, v6, v3
	s_waitcnt lgkmcnt(1)
	v_and_b32_e32 v8, 0xff, v5
	v_and_b32_e32 v9, 0xff00, v5
	v_and_b32_e32 v10, 0xff0000, v5
	v_and_b32_e32 v11, 0xff000000, v5
	s_waitcnt lgkmcnt(0)
	v_or3_b32 v5, v6, 0, 0
	v_or_b32_e32 v8, v8, v9
	s_delay_alu instid0(VALU_DEP_1) | instskip(SKIP_1) | instid1(VALU_DEP_2)
	v_or3_b32 v6, v8, v10, v11
	v_xor_b32_e32 v8, 4, v0
	v_add_f64 v[5:6], v[3:4], v[5:6]
	s_delay_alu instid0(VALU_DEP_2) | instskip(NEXT) | instid1(VALU_DEP_1)
	v_and_b32_e32 v9, 31, v8
	v_dual_cndmask_b32 v4, v4, v6 :: v_dual_lshlrev_b32 v9, 2, v9
	s_delay_alu instid0(VALU_DEP_3)
	v_cndmask_b32_e32 v3, v3, v5, vcc_lo
	v_cmp_gt_i32_e32 vcc_lo, s2, v8
	ds_bpermute_b32 v6, v9, v4
	ds_bpermute_b32 v5, v9, v3
	s_waitcnt lgkmcnt(1)
	v_and_b32_e32 v7, 0xff, v6
	v_and_b32_e32 v9, 0xff00, v6
	v_and_b32_e32 v10, 0xff0000, v6
	v_and_b32_e32 v6, 0xff000000, v6
	s_waitcnt lgkmcnt(0)
	v_or3_b32 v5, v5, 0, 0
	v_or_b32_e32 v7, v7, v9
	s_delay_alu instid0(VALU_DEP_1) | instskip(SKIP_1) | instid1(VALU_DEP_2)
	v_or3_b32 v6, v7, v10, v6
	v_xor_b32_e32 v7, 8, v0
	v_add_f64 v[5:6], v[3:4], v[5:6]
	s_delay_alu instid0(VALU_DEP_2) | instskip(NEXT) | instid1(VALU_DEP_1)
	v_and_b32_e32 v9, 31, v7
	v_dual_cndmask_b32 v4, v4, v6 :: v_dual_lshlrev_b32 v9, 2, v9
	s_delay_alu instid0(VALU_DEP_3)
	v_cndmask_b32_e32 v3, v3, v5, vcc_lo
	;; [unrolled: 20-line block ×3, first 2 shown]
	v_cmp_gt_i32_e32 vcc_lo, s2, v8
	ds_bpermute_b32 v6, v9, v4
	ds_bpermute_b32 v5, v9, v3
	s_waitcnt lgkmcnt(1)
	v_and_b32_e32 v7, 0xff, v6
	v_and_b32_e32 v9, 0xff00, v6
	;; [unrolled: 1-line block ×4, first 2 shown]
	s_waitcnt lgkmcnt(0)
	v_or3_b32 v5, v5, 0, 0
	v_or_b32_e32 v7, v7, v9
	s_delay_alu instid0(VALU_DEP_1) | instskip(SKIP_1) | instid1(VALU_DEP_2)
	v_or3_b32 v6, v7, v10, v6
	v_lshlrev_b32_e32 v7, 2, v0
	v_add_f64 v[5:6], v[3:4], v[5:6]
	s_delay_alu instid0(VALU_DEP_1) | instskip(NEXT) | instid1(VALU_DEP_2)
	v_dual_cndmask_b32 v4, v4, v6 :: v_dual_and_b32 v7, 0x7c, v7
	v_cndmask_b32_e32 v3, v3, v5, vcc_lo
	ds_bpermute_b32 v6, v7, v4
	ds_bpermute_b32 v5, v7, v3
	s_waitcnt lgkmcnt(1)
	v_and_b32_e32 v7, 0xff, v6
	v_and_b32_e32 v8, 0xff00, v6
	;; [unrolled: 1-line block ×4, first 2 shown]
	s_waitcnt lgkmcnt(0)
	v_or3_b32 v5, v5, 0, 0
	v_or_b32_e32 v7, v7, v8
	s_delay_alu instid0(VALU_DEP_1) | instskip(SKIP_1) | instid1(VALU_DEP_2)
	v_or3_b32 v6, v7, v9, v6
	v_xor_b32_e32 v7, 32, v0
	v_add_f64 v[5:6], v[3:4], v[5:6]
	s_delay_alu instid0(VALU_DEP_2) | instskip(NEXT) | instid1(VALU_DEP_2)
	v_cmp_gt_i32_e32 vcc_lo, s2, v7
	v_dual_cndmask_b32 v3, v3, v5 :: v_dual_cndmask_b32 v4, v4, v6
	s_load_b64 s[16:17], s[0:1], 0x28
	v_mbcnt_lo_u32_b32 v11, -1, 0
	s_cbranch_execnz .LBB12_7
.LBB12_6:
	s_delay_alu instid0(VALU_DEP_1) | instskip(NEXT) | instid1(VALU_DEP_1)
	v_xor_b32_e32 v3, 1, v11
	v_cmp_gt_i32_e32 vcc_lo, 32, v3
	v_cndmask_b32_e32 v3, v11, v3, vcc_lo
	s_delay_alu instid0(VALU_DEP_1)
	v_lshlrev_b32_e32 v3, 2, v3
	ds_bpermute_b32 v4, v3, v2
	ds_bpermute_b32 v3, v3, v1
	s_waitcnt lgkmcnt(0)
	v_and_b32_e32 v6, 0xff00, v4
	v_and_b32_e32 v5, 0xff, v4
	;; [unrolled: 1-line block ×4, first 2 shown]
	v_or3_b32 v3, v3, 0, 0
	s_delay_alu instid0(VALU_DEP_4) | instskip(NEXT) | instid1(VALU_DEP_1)
	v_or_b32_e32 v5, v5, v6
	v_or3_b32 v4, v5, v7, v4
	v_xor_b32_e32 v5, 2, v11
	s_delay_alu instid0(VALU_DEP_2) | instskip(NEXT) | instid1(VALU_DEP_2)
	v_add_f64 v[3:4], v[1:2], v[3:4]
	v_cmp_gt_i32_e32 vcc_lo, 32, v5
	v_cndmask_b32_e32 v5, v11, v5, vcc_lo
	s_delay_alu instid0(VALU_DEP_1)
	v_lshlrev_b32_e32 v5, 2, v5
	ds_bpermute_b32 v6, v5, v4
	ds_bpermute_b32 v5, v5, v3
	s_waitcnt lgkmcnt(1)
	v_and_b32_e32 v7, 0xff, v6
	v_and_b32_e32 v8, 0xff00, v6
	v_and_b32_e32 v9, 0xff0000, v6
	v_and_b32_e32 v6, 0xff000000, v6
	s_waitcnt lgkmcnt(0)
	v_or3_b32 v5, v5, 0, 0
	v_or_b32_e32 v7, v7, v8
	s_delay_alu instid0(VALU_DEP_1) | instskip(NEXT) | instid1(VALU_DEP_1)
	v_or3_b32 v6, v7, v9, v6
	v_add_f64 v[3:4], v[3:4], v[5:6]
	v_xor_b32_e32 v5, 4, v11
	s_delay_alu instid0(VALU_DEP_1) | instskip(SKIP_1) | instid1(VALU_DEP_1)
	v_cmp_gt_i32_e32 vcc_lo, 32, v5
	v_cndmask_b32_e32 v5, v11, v5, vcc_lo
	v_lshlrev_b32_e32 v5, 2, v5
	ds_bpermute_b32 v6, v5, v4
	ds_bpermute_b32 v5, v5, v3
	s_waitcnt lgkmcnt(1)
	v_and_b32_e32 v7, 0xff, v6
	v_and_b32_e32 v8, 0xff00, v6
	v_and_b32_e32 v9, 0xff0000, v6
	v_and_b32_e32 v6, 0xff000000, v6
	s_waitcnt lgkmcnt(0)
	v_or3_b32 v5, v5, 0, 0
	v_or_b32_e32 v7, v7, v8
	s_delay_alu instid0(VALU_DEP_1) | instskip(NEXT) | instid1(VALU_DEP_1)
	v_or3_b32 v6, v7, v9, v6
	v_add_f64 v[3:4], v[3:4], v[5:6]
	v_xor_b32_e32 v5, 8, v11
	s_delay_alu instid0(VALU_DEP_1) | instskip(SKIP_1) | instid1(VALU_DEP_1)
	v_cmp_gt_i32_e32 vcc_lo, 32, v5
	v_cndmask_b32_e32 v5, v11, v5, vcc_lo
	;; [unrolled: 18-line block ×3, first 2 shown]
	v_lshlrev_b32_e32 v5, 2, v5
	ds_bpermute_b32 v6, v5, v4
	ds_bpermute_b32 v5, v5, v3
	s_waitcnt lgkmcnt(1)
	v_and_b32_e32 v7, 0xff, v6
	v_and_b32_e32 v8, 0xff00, v6
	;; [unrolled: 1-line block ×4, first 2 shown]
	s_waitcnt lgkmcnt(0)
	v_or3_b32 v5, v5, 0, 0
	v_or_b32_e32 v7, v7, v8
	s_delay_alu instid0(VALU_DEP_1) | instskip(NEXT) | instid1(VALU_DEP_1)
	v_or3_b32 v6, v7, v9, v6
	v_add_f64 v[3:4], v[3:4], v[5:6]
	v_or_b32_e32 v5, 32, v11
	s_delay_alu instid0(VALU_DEP_1) | instskip(SKIP_1) | instid1(VALU_DEP_1)
	v_cmp_gt_i32_e32 vcc_lo, 32, v5
	v_cndmask_b32_e32 v5, v11, v5, vcc_lo
	v_lshlrev_b32_e32 v5, 2, v5
	ds_bpermute_b32 v6, v5, v4
	ds_bpermute_b32 v5, v5, v3
	s_waitcnt lgkmcnt(1)
	v_and_b32_e32 v7, 0xff, v6
	v_and_b32_e32 v8, 0xff00, v6
	;; [unrolled: 1-line block ×4, first 2 shown]
	s_waitcnt lgkmcnt(0)
	v_or3_b32 v5, v5, 0, 0
	v_or_b32_e32 v7, v7, v8
	s_delay_alu instid0(VALU_DEP_1) | instskip(NEXT) | instid1(VALU_DEP_1)
	v_or3_b32 v6, v7, v9, v6
	v_add_f64 v[3:4], v[3:4], v[5:6]
.LBB12_7:
	v_ashrrev_i32_e32 v12, 31, v0
	s_load_b32 s0, s[0:1], 0x60
	s_cmp_gt_i32 s2, 64
	s_cselect_b32 s1, -1, 0
	s_delay_alu instid0(VALU_DEP_1) | instskip(SKIP_1) | instid1(VALU_DEP_1)
	v_lshrrev_b32_e32 v5, 26, v12
	s_cmpk_lt_i32 s2, 0x41
	v_add_nc_u32_e32 v6, v0, v5
	s_delay_alu instid0(VALU_DEP_1) | instskip(SKIP_1) | instid1(VALU_DEP_2)
	v_and_b32_e32 v5, 0xffffffc0, v6
	v_ashrrev_i32_e32 v13, 6, v6
	v_sub_nc_u32_e32 v5, v0, v5
	s_delay_alu instid0(VALU_DEP_1)
	v_ashrrev_i32_e32 v6, 31, v5
	s_cbranch_scc1 .LBB12_15
; %bb.8:
	s_mov_b32 s18, exec_lo
	v_cmpx_eq_u32_e32 0, v5
	s_cbranch_execz .LBB12_10
; %bb.9:
	v_lshlrev_b32_e32 v7, 3, v13
	ds_store_b64 v7, v[3:4]
.LBB12_10:
	s_or_b32 exec_lo, exec_lo, s18
	v_add_co_u32 v7, vcc_lo, v0, 63
	v_add_co_ci_u32_e32 v8, vcc_lo, 0, v12, vcc_lo
	s_mov_b32 s18, exec_lo
	s_waitcnt lgkmcnt(0)
	s_barrier
	buffer_gl0_inv
	v_cmpx_gt_u64_e32 0x7f, v[7:8]
	s_cbranch_execz .LBB12_14
; %bb.11:
	v_lshlrev_b64 v[3:4], 6, v[5:6]
	s_delay_alu instid0(VALU_DEP_1)
	v_cmp_gt_i64_e32 vcc_lo, s[2:3], v[3:4]
	v_dual_mov_b32 v3, s8 :: v_dual_mov_b32 v4, s9
	s_and_saveexec_b32 s19, vcc_lo
	s_cbranch_execz .LBB12_13
; %bb.12:
	v_lshlrev_b32_e32 v3, 3, v5
	ds_load_b64 v[3:4], v3
.LBB12_13:
	s_or_b32 exec_lo, exec_lo, s19
	v_xor_b32_e32 v7, 1, v11
	s_delay_alu instid0(VALU_DEP_1) | instskip(SKIP_1) | instid1(VALU_DEP_1)
	v_cmp_gt_i32_e32 vcc_lo, 32, v7
	v_cndmask_b32_e32 v7, v11, v7, vcc_lo
	v_lshlrev_b32_e32 v7, 2, v7
	s_waitcnt lgkmcnt(0)
	ds_bpermute_b32 v8, v7, v4
	ds_bpermute_b32 v7, v7, v3
	s_waitcnt lgkmcnt(1)
	v_and_b32_e32 v10, 0xff00, v8
	v_and_b32_e32 v9, 0xff, v8
	v_and_b32_e32 v14, 0xff0000, v8
	v_and_b32_e32 v8, 0xff000000, v8
	s_waitcnt lgkmcnt(0)
	v_or3_b32 v7, v7, 0, 0
	v_or_b32_e32 v9, v9, v10
	s_delay_alu instid0(VALU_DEP_1) | instskip(NEXT) | instid1(VALU_DEP_1)
	v_or3_b32 v8, v9, v14, v8
	v_add_f64 v[3:4], v[3:4], v[7:8]
	v_xor_b32_e32 v7, 2, v11
	s_delay_alu instid0(VALU_DEP_1) | instskip(SKIP_1) | instid1(VALU_DEP_1)
	v_cmp_gt_i32_e32 vcc_lo, 32, v7
	v_cndmask_b32_e32 v7, v11, v7, vcc_lo
	v_lshlrev_b32_e32 v7, 2, v7
	ds_bpermute_b32 v8, v7, v4
	ds_bpermute_b32 v7, v7, v3
	s_waitcnt lgkmcnt(1)
	v_and_b32_e32 v9, 0xff, v8
	v_and_b32_e32 v10, 0xff00, v8
	v_and_b32_e32 v14, 0xff0000, v8
	v_and_b32_e32 v8, 0xff000000, v8
	s_waitcnt lgkmcnt(0)
	v_or3_b32 v7, v7, 0, 0
	v_or_b32_e32 v9, v9, v10
	s_delay_alu instid0(VALU_DEP_1) | instskip(NEXT) | instid1(VALU_DEP_1)
	v_or3_b32 v8, v9, v14, v8
	v_add_f64 v[3:4], v[3:4], v[7:8]
	v_xor_b32_e32 v7, 4, v11
	s_delay_alu instid0(VALU_DEP_1) | instskip(SKIP_1) | instid1(VALU_DEP_1)
	v_cmp_gt_i32_e32 vcc_lo, 32, v7
	v_cndmask_b32_e32 v7, v11, v7, vcc_lo
	v_lshlrev_b32_e32 v7, 2, v7
	;; [unrolled: 18-line block ×3, first 2 shown]
	ds_bpermute_b32 v8, v7, v4
	ds_bpermute_b32 v7, v7, v3
	s_waitcnt lgkmcnt(1)
	v_and_b32_e32 v9, 0xff, v8
	v_and_b32_e32 v10, 0xff00, v8
	;; [unrolled: 1-line block ×4, first 2 shown]
	s_waitcnt lgkmcnt(0)
	v_or3_b32 v7, v7, 0, 0
	v_or_b32_e32 v9, v9, v10
	s_delay_alu instid0(VALU_DEP_1) | instskip(NEXT) | instid1(VALU_DEP_1)
	v_or3_b32 v8, v9, v14, v8
	v_add_f64 v[3:4], v[3:4], v[7:8]
.LBB12_14:
	s_or_b32 exec_lo, exec_lo, s18
	s_barrier
	buffer_gl0_inv
.LBB12_15:
	s_mul_i32 s14, s4, s14
	s_mul_i32 s4, s5, s4
	s_add_i32 s5, s14, s12
	s_mul_i32 s12, s4, s15
	s_delay_alu instid0(SALU_CYCLE_1)
	s_add_i32 s5, s5, s12
	s_waitcnt lgkmcnt(0)
	s_mul_i32 s12, s0, s4
	s_ashr_i32 s0, s5, 31
	s_ashr_i32 s4, s12, 31
	s_lshr_b32 s0, s0, 27
	s_lshr_b32 s4, s4, 27
	s_add_i32 s15, s5, s0
	s_add_i32 s0, s12, s4
	s_and_b32 s4, s15, 0xffffffe0
	s_and_b32 s14, s0, 0xffffffe0
	s_sub_i32 s4, s5, s4
	s_sub_i32 s5, s12, s14
	s_ashr_i32 s0, s0, 5
	s_cmp_lt_i32 s4, s5
	s_cselect_b32 s5, -1, 0
	s_delay_alu instid0(SALU_CYCLE_1)
	s_cmp_lg_u32 s5, 0
	s_addc_u32 s5, s0, 0
	v_cmp_eq_u32_e64 s0, 0, v0
	s_cmp_gt_u32 s5, 1
	s_cbranch_scc0 .LBB12_36
; %bb.16:
	s_add_i32 s12, s12, 31
	s_delay_alu instid0(SALU_CYCLE_1) | instskip(NEXT) | instid1(SALU_CYCLE_1)
	s_ashr_i32 s14, s12, 31
	s_lshr_b32 s14, s14, 27
	s_delay_alu instid0(SALU_CYCLE_1) | instskip(NEXT) | instid1(SALU_CYCLE_1)
	s_add_i32 s12, s12, s14
	s_ashr_i32 s12, s12, 5
	s_delay_alu instid0(SALU_CYCLE_1)
	s_mul_i32 s12, s12, s4
	s_and_saveexec_b32 s14, s0
	s_cbranch_execz .LBB12_18
; %bb.17:
	s_ashr_i32 s15, s15, 5
	s_lshl_b32 s20, s4, 3
	s_add_i32 s18, s12, s15
	s_delay_alu instid0(SALU_CYCLE_1) | instskip(NEXT) | instid1(SALU_CYCLE_1)
	s_ashr_i32 s19, s18, 31
	s_lshl_b64 s[18:19], s[18:19], 3
	s_delay_alu instid0(SALU_CYCLE_1) | instskip(SKIP_4) | instid1(SALU_CYCLE_1)
	s_add_u32 s18, s16, s18
	s_addc_u32 s19, s17, s19
	s_ashr_i32 s21, s20, 31
	v_dual_mov_b32 v7, s18 :: v_dual_mov_b32 v8, s19
	s_lshl_b64 s[20:21], s[20:21], 2
	s_add_u32 s10, s10, s20
	s_addc_u32 s11, s11, s21
	s_add_i32 s15, s5, -1
	s_delay_alu instid0(SALU_CYCLE_1)
	v_dual_mov_b32 v9, 0 :: v_dual_mov_b32 v10, s15
	flat_store_b64 v[7:8], v[3:4]
	s_waitcnt vmcnt(3) expcnt(0) lgkmcnt(0)
	s_waitcnt_vscnt null, 0x0
	global_atomic_inc_u32 v7, v9, v10, s[10:11] glc
	s_waitcnt vmcnt(0)
	v_cmp_eq_u32_e32 vcc_lo, s15, v7
	v_cndmask_b32_e64 v7, 0, 1, vcc_lo
	ds_store_b8 v9, v7 offset:128
.LBB12_18:
	s_or_b32 exec_lo, exec_lo, s14
	v_mov_b32_e32 v7, 0
	s_waitcnt lgkmcnt(0)
	s_barrier
	buffer_gl0_inv
	s_mov_b32 s10, 0
	ds_load_u8 v7, v7 offset:128
	s_waitcnt lgkmcnt(0)
	v_cmp_eq_u32_e32 vcc_lo, 0, v7
	v_dual_mov_b32 v8, v2 :: v_dual_mov_b32 v7, v1
	s_cbranch_vccnz .LBB12_35
; %bb.19:
	v_dual_mov_b32 v7, s8 :: v_dual_mov_b32 v8, s9
	s_mov_b32 s10, exec_lo
	buffer_gl0_inv
	v_cmpx_gt_u32_e64 s5, v0
	s_cbranch_execz .LBB12_23
; %bb.20:
	v_dual_mov_b32 v7, s8 :: v_dual_mov_b32 v8, s9
	v_mov_b32_e32 v10, 0
	v_mov_b32_e32 v14, v0
	s_mov_b32 s11, 0
.LBB12_21:                              ; =>This Inner Loop Header: Depth=1
	s_delay_alu instid0(VALU_DEP_1) | instskip(SKIP_1) | instid1(VALU_DEP_2)
	v_add_nc_u32_e32 v9, s12, v14
	v_add_nc_u32_e32 v14, s2, v14
	v_lshlrev_b64 v[15:16], 3, v[9:10]
	s_delay_alu instid0(VALU_DEP_1) | instskip(NEXT) | instid1(VALU_DEP_2)
	v_add_co_u32 v15, vcc_lo, s16, v15
	v_add_co_ci_u32_e32 v16, vcc_lo, s17, v16, vcc_lo
	s_delay_alu instid0(VALU_DEP_4)
	v_cmp_le_u32_e32 vcc_lo, s5, v14
	flat_load_b64 v[15:16], v[15:16] glc
	s_or_b32 s11, vcc_lo, s11
	s_waitcnt vmcnt(0) lgkmcnt(0)
	v_add_f64 v[7:8], v[7:8], v[15:16]
	s_and_not1_b32 exec_lo, exec_lo, s11
	s_cbranch_execnz .LBB12_21
; %bb.22:
	s_or_b32 exec_lo, exec_lo, s11
.LBB12_23:
	s_delay_alu instid0(SALU_CYCLE_1) | instskip(NEXT) | instid1(SALU_CYCLE_1)
	s_or_b32 exec_lo, exec_lo, s10
	s_and_not1_b32 vcc_lo, exec_lo, s13
	s_cbranch_vccnz .LBB12_41
; %bb.24:
	v_xor_b32_e32 v14, 1, v0
	s_delay_alu instid0(VALU_DEP_1) | instskip(SKIP_1) | instid1(VALU_DEP_2)
	v_and_b32_e32 v9, 31, v14
	v_cmp_gt_i32_e32 vcc_lo, s2, v14
	v_lshlrev_b32_e32 v9, 2, v9
	ds_bpermute_b32 v10, v9, v8
	ds_bpermute_b32 v9, v9, v7
	s_waitcnt lgkmcnt(1)
	v_and_b32_e32 v15, 0xff, v10
	v_and_b32_e32 v16, 0xff00, v10
	v_and_b32_e32 v17, 0xff0000, v10
	v_and_b32_e32 v10, 0xff000000, v10
	s_waitcnt lgkmcnt(0)
	v_or3_b32 v9, v9, 0, 0
	v_or_b32_e32 v15, v15, v16
	v_xor_b32_e32 v16, 2, v0
	s_delay_alu instid0(VALU_DEP_2) | instskip(NEXT) | instid1(VALU_DEP_2)
	v_or3_b32 v10, v15, v17, v10
	v_and_b32_e32 v15, 31, v16
	s_delay_alu instid0(VALU_DEP_2) | instskip(NEXT) | instid1(VALU_DEP_1)
	v_add_f64 v[9:10], v[7:8], v[9:10]
	v_dual_cndmask_b32 v10, v8, v10 :: v_dual_lshlrev_b32 v15, 2, v15
	s_delay_alu instid0(VALU_DEP_2)
	v_cndmask_b32_e32 v9, v7, v9, vcc_lo
	v_cmp_gt_i32_e32 vcc_lo, s2, v16
	ds_bpermute_b32 v14, v15, v10
	ds_bpermute_b32 v15, v15, v9
	s_waitcnt lgkmcnt(1)
	v_and_b32_e32 v17, 0xff, v14
	v_and_b32_e32 v18, 0xff00, v14
	;; [unrolled: 1-line block ×4, first 2 shown]
	s_waitcnt lgkmcnt(0)
	v_or3_b32 v14, v15, 0, 0
	v_or_b32_e32 v17, v17, v18
	s_delay_alu instid0(VALU_DEP_1) | instskip(SKIP_1) | instid1(VALU_DEP_2)
	v_or3_b32 v15, v17, v19, v20
	v_xor_b32_e32 v17, 4, v0
	v_add_f64 v[14:15], v[9:10], v[14:15]
	s_delay_alu instid0(VALU_DEP_1) | instskip(NEXT) | instid1(VALU_DEP_1)
	v_dual_cndmask_b32 v9, v9, v14 :: v_dual_and_b32 v18, 31, v17
	v_lshlrev_b32_e32 v18, 2, v18
	s_delay_alu instid0(VALU_DEP_3)
	v_cndmask_b32_e32 v10, v10, v15, vcc_lo
	v_cmp_gt_i32_e32 vcc_lo, s2, v17
	ds_bpermute_b32 v14, v18, v9
	ds_bpermute_b32 v15, v18, v10
	s_waitcnt lgkmcnt(1)
	v_or3_b32 v14, v14, 0, 0
	s_waitcnt lgkmcnt(0)
	v_and_b32_e32 v16, 0xff, v15
	v_and_b32_e32 v18, 0xff00, v15
	;; [unrolled: 1-line block ×4, first 2 shown]
	s_delay_alu instid0(VALU_DEP_3) | instskip(NEXT) | instid1(VALU_DEP_1)
	v_or_b32_e32 v16, v16, v18
	v_or3_b32 v15, v16, v19, v15
	v_xor_b32_e32 v16, 8, v0
	s_delay_alu instid0(VALU_DEP_2) | instskip(NEXT) | instid1(VALU_DEP_2)
	v_add_f64 v[14:15], v[9:10], v[14:15]
	v_and_b32_e32 v18, 31, v16
	s_delay_alu instid0(VALU_DEP_1) | instskip(NEXT) | instid1(VALU_DEP_3)
	v_lshlrev_b32_e32 v18, 2, v18
	v_dual_cndmask_b32 v10, v10, v15 :: v_dual_cndmask_b32 v9, v9, v14
	v_cmp_gt_i32_e32 vcc_lo, s2, v16
	ds_bpermute_b32 v15, v18, v10
	ds_bpermute_b32 v14, v18, v9
	s_waitcnt lgkmcnt(1)
	v_and_b32_e32 v17, 0xff, v15
	v_and_b32_e32 v18, 0xff00, v15
	;; [unrolled: 1-line block ×4, first 2 shown]
	s_waitcnt lgkmcnt(0)
	v_or3_b32 v14, v14, 0, 0
	v_or_b32_e32 v17, v17, v18
	s_delay_alu instid0(VALU_DEP_1) | instskip(SKIP_1) | instid1(VALU_DEP_2)
	v_or3_b32 v15, v17, v19, v15
	v_xor_b32_e32 v17, 16, v0
	v_add_f64 v[14:15], v[9:10], v[14:15]
	s_delay_alu instid0(VALU_DEP_2) | instskip(NEXT) | instid1(VALU_DEP_1)
	v_and_b32_e32 v18, 31, v17
	v_lshlrev_b32_e32 v18, 2, v18
	s_delay_alu instid0(VALU_DEP_3)
	v_dual_cndmask_b32 v10, v10, v15 :: v_dual_cndmask_b32 v9, v9, v14
	v_cmp_gt_i32_e32 vcc_lo, s2, v17
	ds_bpermute_b32 v15, v18, v10
	ds_bpermute_b32 v14, v18, v9
	s_waitcnt lgkmcnt(1)
	v_and_b32_e32 v16, 0xff, v15
	v_and_b32_e32 v18, 0xff00, v15
	;; [unrolled: 1-line block ×4, first 2 shown]
	s_waitcnt lgkmcnt(0)
	v_or3_b32 v14, v14, 0, 0
	v_or_b32_e32 v16, v16, v18
	s_delay_alu instid0(VALU_DEP_1) | instskip(SKIP_1) | instid1(VALU_DEP_2)
	v_or3_b32 v15, v16, v19, v15
	v_lshlrev_b32_e32 v16, 2, v0
	v_add_f64 v[14:15], v[9:10], v[14:15]
	s_delay_alu instid0(VALU_DEP_2) | instskip(NEXT) | instid1(VALU_DEP_2)
	v_and_b32_e32 v16, 0x7c, v16
	v_dual_cndmask_b32 v10, v10, v15 :: v_dual_cndmask_b32 v9, v9, v14
	ds_bpermute_b32 v15, v16, v10
	ds_bpermute_b32 v14, v16, v9
	s_waitcnt lgkmcnt(1)
	v_and_b32_e32 v16, 0xff, v15
	v_and_b32_e32 v17, 0xff00, v15
	;; [unrolled: 1-line block ×4, first 2 shown]
	s_waitcnt lgkmcnt(0)
	v_or3_b32 v14, v14, 0, 0
	v_or_b32_e32 v16, v16, v17
	s_delay_alu instid0(VALU_DEP_1) | instskip(SKIP_1) | instid1(VALU_DEP_2)
	v_or3_b32 v15, v16, v18, v15
	v_xor_b32_e32 v16, 32, v0
	v_add_f64 v[14:15], v[9:10], v[14:15]
	s_delay_alu instid0(VALU_DEP_2) | instskip(NEXT) | instid1(VALU_DEP_2)
	v_cmp_gt_i32_e32 vcc_lo, s2, v16
	v_dual_cndmask_b32 v9, v9, v14 :: v_dual_cndmask_b32 v10, v10, v15
	s_cbranch_execnz .LBB12_26
.LBB12_25:
	v_xor_b32_e32 v9, 1, v11
	s_delay_alu instid0(VALU_DEP_1) | instskip(SKIP_1) | instid1(VALU_DEP_1)
	v_cmp_gt_i32_e32 vcc_lo, 32, v9
	v_cndmask_b32_e32 v9, v11, v9, vcc_lo
	v_lshlrev_b32_e32 v9, 2, v9
	ds_bpermute_b32 v10, v9, v8
	ds_bpermute_b32 v9, v9, v7
	s_waitcnt lgkmcnt(1)
	v_and_b32_e32 v14, 0xff, v10
	v_and_b32_e32 v15, 0xff00, v10
	v_and_b32_e32 v16, 0xff0000, v10
	v_and_b32_e32 v10, 0xff000000, v10
	s_waitcnt lgkmcnt(0)
	v_or3_b32 v9, v9, 0, 0
	v_or_b32_e32 v14, v14, v15
	s_delay_alu instid0(VALU_DEP_1) | instskip(NEXT) | instid1(VALU_DEP_1)
	v_or3_b32 v10, v14, v16, v10
	v_add_f64 v[7:8], v[7:8], v[9:10]
	v_xor_b32_e32 v9, 2, v11
	s_delay_alu instid0(VALU_DEP_1) | instskip(SKIP_1) | instid1(VALU_DEP_1)
	v_cmp_gt_i32_e32 vcc_lo, 32, v9
	v_cndmask_b32_e32 v9, v11, v9, vcc_lo
	v_lshlrev_b32_e32 v9, 2, v9
	ds_bpermute_b32 v10, v9, v8
	ds_bpermute_b32 v9, v9, v7
	s_waitcnt lgkmcnt(1)
	v_and_b32_e32 v14, 0xff, v10
	v_and_b32_e32 v15, 0xff00, v10
	v_and_b32_e32 v16, 0xff0000, v10
	v_and_b32_e32 v10, 0xff000000, v10
	s_waitcnt lgkmcnt(0)
	v_or3_b32 v9, v9, 0, 0
	v_or_b32_e32 v14, v14, v15
	s_delay_alu instid0(VALU_DEP_1) | instskip(NEXT) | instid1(VALU_DEP_1)
	v_or3_b32 v10, v14, v16, v10
	v_add_f64 v[7:8], v[7:8], v[9:10]
	;; [unrolled: 18-line block ×5, first 2 shown]
	v_or_b32_e32 v9, 32, v11
	s_delay_alu instid0(VALU_DEP_1) | instskip(SKIP_1) | instid1(VALU_DEP_1)
	v_cmp_gt_i32_e32 vcc_lo, 32, v9
	v_cndmask_b32_e32 v9, v11, v9, vcc_lo
	v_lshlrev_b32_e32 v9, 2, v9
	ds_bpermute_b32 v10, v9, v8
	ds_bpermute_b32 v9, v9, v7
	s_waitcnt lgkmcnt(1)
	v_and_b32_e32 v14, 0xff, v10
	v_and_b32_e32 v15, 0xff00, v10
	v_and_b32_e32 v16, 0xff0000, v10
	v_and_b32_e32 v10, 0xff000000, v10
	s_waitcnt lgkmcnt(0)
	v_or3_b32 v9, v9, 0, 0
	v_or_b32_e32 v14, v14, v15
	s_delay_alu instid0(VALU_DEP_1) | instskip(NEXT) | instid1(VALU_DEP_1)
	v_or3_b32 v10, v14, v16, v10
	v_add_f64 v[9:10], v[7:8], v[9:10]
.LBB12_26:
	s_and_not1_b32 vcc_lo, exec_lo, s1
	s_cbranch_vccnz .LBB12_34
; %bb.27:
	s_mov_b32 s1, exec_lo
	v_cmpx_eq_u32_e32 0, v5
	s_cbranch_execz .LBB12_29
; %bb.28:
	v_lshlrev_b32_e32 v7, 3, v13
	ds_store_b64 v7, v[9:10]
.LBB12_29:
	s_or_b32 exec_lo, exec_lo, s1
	v_add_co_u32 v7, vcc_lo, v0, 63
	v_add_co_ci_u32_e32 v8, vcc_lo, 0, v12, vcc_lo
	s_mov_b32 s1, exec_lo
	s_waitcnt lgkmcnt(0)
	s_barrier
	buffer_gl0_inv
	v_cmpx_gt_u64_e32 0x7f, v[7:8]
	s_cbranch_execz .LBB12_33
; %bb.30:
	v_lshlrev_b64 v[6:7], 6, v[5:6]
	s_delay_alu instid0(VALU_DEP_1)
	v_cmp_gt_i64_e32 vcc_lo, s[2:3], v[6:7]
	v_dual_mov_b32 v6, s8 :: v_dual_mov_b32 v7, s9
	s_and_saveexec_b32 s2, vcc_lo
	s_cbranch_execz .LBB12_32
; %bb.31:
	v_lshlrev_b32_e32 v0, 3, v5
	ds_load_b64 v[6:7], v0
.LBB12_32:
	s_or_b32 exec_lo, exec_lo, s2
	v_xor_b32_e32 v0, 1, v11
	s_delay_alu instid0(VALU_DEP_1) | instskip(SKIP_1) | instid1(VALU_DEP_1)
	v_cmp_gt_i32_e32 vcc_lo, 32, v0
	v_cndmask_b32_e32 v0, v11, v0, vcc_lo
	v_lshlrev_b32_e32 v0, 2, v0
	s_waitcnt lgkmcnt(0)
	ds_bpermute_b32 v5, v0, v7
	ds_bpermute_b32 v0, v0, v6
	s_waitcnt lgkmcnt(1)
	v_and_b32_e32 v9, 0xff00, v5
	v_and_b32_e32 v8, 0xff, v5
	;; [unrolled: 1-line block ×3, first 2 shown]
	s_delay_alu instid0(VALU_DEP_2) | instskip(SKIP_3) | instid1(VALU_DEP_1)
	v_or_b32_e32 v9, v8, v9
	s_waitcnt lgkmcnt(0)
	v_or3_b32 v8, v0, 0, 0
	v_xor_b32_e32 v0, 2, v11
	v_cmp_gt_i32_e32 vcc_lo, 32, v0
	v_dual_cndmask_b32 v0, v11, v0 :: v_dual_and_b32 v5, 0xff000000, v5
	s_delay_alu instid0(VALU_DEP_1) | instskip(NEXT) | instid1(VALU_DEP_2)
	v_or3_b32 v9, v9, v10, v5
	v_lshlrev_b32_e32 v0, 2, v0
	s_delay_alu instid0(VALU_DEP_2)
	v_add_f64 v[5:6], v[6:7], v[8:9]
	ds_bpermute_b32 v7, v0, v6
	ds_bpermute_b32 v0, v0, v5
	s_waitcnt lgkmcnt(1)
	v_and_b32_e32 v8, 0xff, v7
	v_and_b32_e32 v9, 0xff00, v7
	;; [unrolled: 1-line block ×4, first 2 shown]
	s_waitcnt lgkmcnt(0)
	v_or3_b32 v7, v0, 0, 0
	v_xor_b32_e32 v0, 4, v11
	s_delay_alu instid0(VALU_DEP_1) | instskip(SKIP_2) | instid1(VALU_DEP_2)
	v_cmp_gt_i32_e32 vcc_lo, 32, v0
	v_cndmask_b32_e32 v0, v11, v0, vcc_lo
	v_or_b32_e32 v8, v8, v9
	v_lshlrev_b32_e32 v0, 2, v0
	s_delay_alu instid0(VALU_DEP_2) | instskip(NEXT) | instid1(VALU_DEP_1)
	v_or3_b32 v8, v8, v10, v12
	v_add_f64 v[5:6], v[5:6], v[7:8]
	ds_bpermute_b32 v7, v0, v6
	ds_bpermute_b32 v0, v0, v5
	s_waitcnt lgkmcnt(1)
	v_and_b32_e32 v8, 0xff, v7
	v_and_b32_e32 v9, 0xff00, v7
	;; [unrolled: 1-line block ×4, first 2 shown]
	s_waitcnt lgkmcnt(0)
	v_or3_b32 v7, v0, 0, 0
	v_xor_b32_e32 v0, 8, v11
	s_delay_alu instid0(VALU_DEP_1) | instskip(SKIP_2) | instid1(VALU_DEP_2)
	v_cmp_gt_i32_e32 vcc_lo, 32, v0
	v_cndmask_b32_e32 v0, v11, v0, vcc_lo
	v_or_b32_e32 v8, v8, v9
	v_lshlrev_b32_e32 v0, 2, v0
	s_delay_alu instid0(VALU_DEP_2) | instskip(NEXT) | instid1(VALU_DEP_1)
	v_or3_b32 v8, v8, v10, v12
	v_add_f64 v[5:6], v[5:6], v[7:8]
	ds_bpermute_b32 v7, v0, v6
	ds_bpermute_b32 v0, v0, v5
	s_waitcnt lgkmcnt(1)
	v_and_b32_e32 v8, 0xff, v7
	v_and_b32_e32 v9, 0xff00, v7
	;; [unrolled: 1-line block ×4, first 2 shown]
	s_delay_alu instid0(VALU_DEP_3) | instskip(NEXT) | instid1(VALU_DEP_1)
	v_or_b32_e32 v8, v8, v9
	v_or3_b32 v8, v8, v10, v7
	s_waitcnt lgkmcnt(0)
	v_or3_b32 v7, v0, 0, 0
	s_delay_alu instid0(VALU_DEP_1)
	v_add_f64 v[9:10], v[5:6], v[7:8]
.LBB12_33:
	s_or_b32 exec_lo, exec_lo, s1
	s_barrier
	buffer_gl0_inv
.LBB12_34:
	v_mov_b32_e32 v0, 0
	s_delay_alu instid0(VALU_DEP_2) | instskip(NEXT) | instid1(VALU_DEP_3)
	v_cndmask_b32_e64 v8, v2, v10, s0
	v_cndmask_b32_e64 v7, v1, v9, s0
	ds_load_u8 v0, v0 offset:128
	s_waitcnt lgkmcnt(0)
	v_and_b32_e32 v0, 1, v0
	s_delay_alu instid0(VALU_DEP_1)
	v_cmp_eq_u32_e64 s10, 1, v0
.LBB12_35:
	s_delay_alu instid0(VALU_DEP_1)
	s_and_b32 s1, s0, s10
	s_branch .LBB12_38
.LBB12_36:
                                        ; implicit-def: $sgpr1
                                        ; implicit-def: $vgpr7_vgpr8
	s_cbranch_execz .LBB12_38
; %bb.37:
	s_delay_alu instid0(VALU_DEP_1) | instskip(SKIP_3) | instid1(SALU_CYCLE_1)
	v_cndmask_b32_e64 v8, v2, v4, s0
	v_cndmask_b32_e64 v7, v1, v3, s0
	s_and_not1_b32 s1, s1, exec_lo
	s_and_b32 s0, s0, exec_lo
	s_or_b32 s1, s1, s0
.LBB12_38:
	s_delay_alu instid0(SALU_CYCLE_1)
	s_and_saveexec_b32 s0, s1
	s_cbranch_execz .LBB12_3
; %bb.39:
	s_ashr_i32 s5, s4, 31
	s_delay_alu instid0(SALU_CYCLE_1) | instskip(NEXT) | instid1(SALU_CYCLE_1)
	s_lshl_b64 s[0:1], s[4:5], 3
	s_add_u32 s0, s6, s0
	s_addc_u32 s1, s7, s1
	s_delay_alu instid0(SALU_CYCLE_1)
	v_dual_mov_b32 v0, s0 :: v_dual_mov_b32 v1, s1
	flat_store_b64 v[0:1], v[7:8]
	s_endpgm
.LBB12_40:
                                        ; implicit-def: $vgpr3_vgpr4
	s_load_b64 s[16:17], s[0:1], 0x28
	v_mbcnt_lo_u32_b32 v11, -1, 0
	s_and_not1_b32 vcc_lo, exec_lo, s18
	s_cbranch_vccz .LBB12_6
	s_branch .LBB12_7
.LBB12_41:
                                        ; implicit-def: $vgpr9_vgpr10
	s_branch .LBB12_25
	.section	.rodata,"a",@progbits
	.p2align	6, 0x0
	.amdhsa_kernel _ZN4RAJA6policy3hip4impl18forallp_hip_kernelINS1_8hip_execINS_17iteration_mapping6DirectENS_3hip11IndexGlobalILNS_9named_dimE0ELi256ELi0EEENS7_40AvoidDeviceMaxThreadOccupancyConcretizerINS7_34FractionOffsetOccupancyConcretizerINS_8FractionImLm1ELm1EEELln1EEEEELb1EEENS_9Iterators16numeric_iteratorIllPlEEZN8rajaperf9algorithm10REDUCE_SUM17runHipVariantRAJAILm256ENSM_13gpu_algorithm19block_device_helperENSM_11gpu_mapping20global_direct_helperEEEvNSM_9VariantIDEEUllE_lNS_4expt15ForallParamPackIJEEES6_SA_TnNSt9enable_ifIXaasr3std10is_base_ofINS5_10DirectBaseET4_EE5valuegtsrT5_10block_sizeLi0EEmE4typeELm256EEEvT1_T0_T2_T3_
		.amdhsa_group_segment_fixed_size 129
		.amdhsa_private_segment_fixed_size 0
		.amdhsa_kernarg_size 344
		.amdhsa_user_sgpr_count 13
		.amdhsa_user_sgpr_dispatch_ptr 0
		.amdhsa_user_sgpr_queue_ptr 0
		.amdhsa_user_sgpr_kernarg_segment_ptr 1
		.amdhsa_user_sgpr_dispatch_id 0
		.amdhsa_user_sgpr_private_segment_size 0
		.amdhsa_wavefront_size32 1
		.amdhsa_uses_dynamic_stack 0
		.amdhsa_enable_private_segment 0
		.amdhsa_system_sgpr_workgroup_id_x 1
		.amdhsa_system_sgpr_workgroup_id_y 1
		.amdhsa_system_sgpr_workgroup_id_z 1
		.amdhsa_system_sgpr_workgroup_info 0
		.amdhsa_system_vgpr_workitem_id 2
		.amdhsa_next_free_vgpr 21
		.amdhsa_next_free_sgpr 22
		.amdhsa_reserve_vcc 1
		.amdhsa_float_round_mode_32 0
		.amdhsa_float_round_mode_16_64 0
		.amdhsa_float_denorm_mode_32 3
		.amdhsa_float_denorm_mode_16_64 3
		.amdhsa_dx10_clamp 1
		.amdhsa_ieee_mode 1
		.amdhsa_fp16_overflow 0
		.amdhsa_workgroup_processor_mode 1
		.amdhsa_memory_ordered 1
		.amdhsa_forward_progress 0
		.amdhsa_shared_vgpr_count 0
		.amdhsa_exception_fp_ieee_invalid_op 0
		.amdhsa_exception_fp_denorm_src 0
		.amdhsa_exception_fp_ieee_div_zero 0
		.amdhsa_exception_fp_ieee_overflow 0
		.amdhsa_exception_fp_ieee_underflow 0
		.amdhsa_exception_fp_ieee_inexact 0
		.amdhsa_exception_int_div_zero 0
	.end_amdhsa_kernel
	.section	.text._ZN4RAJA6policy3hip4impl18forallp_hip_kernelINS1_8hip_execINS_17iteration_mapping6DirectENS_3hip11IndexGlobalILNS_9named_dimE0ELi256ELi0EEENS7_40AvoidDeviceMaxThreadOccupancyConcretizerINS7_34FractionOffsetOccupancyConcretizerINS_8FractionImLm1ELm1EEELln1EEEEELb1EEENS_9Iterators16numeric_iteratorIllPlEEZN8rajaperf9algorithm10REDUCE_SUM17runHipVariantRAJAILm256ENSM_13gpu_algorithm19block_device_helperENSM_11gpu_mapping20global_direct_helperEEEvNSM_9VariantIDEEUllE_lNS_4expt15ForallParamPackIJEEES6_SA_TnNSt9enable_ifIXaasr3std10is_base_ofINS5_10DirectBaseET4_EE5valuegtsrT5_10block_sizeLi0EEmE4typeELm256EEEvT1_T0_T2_T3_,"axG",@progbits,_ZN4RAJA6policy3hip4impl18forallp_hip_kernelINS1_8hip_execINS_17iteration_mapping6DirectENS_3hip11IndexGlobalILNS_9named_dimE0ELi256ELi0EEENS7_40AvoidDeviceMaxThreadOccupancyConcretizerINS7_34FractionOffsetOccupancyConcretizerINS_8FractionImLm1ELm1EEELln1EEEEELb1EEENS_9Iterators16numeric_iteratorIllPlEEZN8rajaperf9algorithm10REDUCE_SUM17runHipVariantRAJAILm256ENSM_13gpu_algorithm19block_device_helperENSM_11gpu_mapping20global_direct_helperEEEvNSM_9VariantIDEEUllE_lNS_4expt15ForallParamPackIJEEES6_SA_TnNSt9enable_ifIXaasr3std10is_base_ofINS5_10DirectBaseET4_EE5valuegtsrT5_10block_sizeLi0EEmE4typeELm256EEEvT1_T0_T2_T3_,comdat
.Lfunc_end12:
	.size	_ZN4RAJA6policy3hip4impl18forallp_hip_kernelINS1_8hip_execINS_17iteration_mapping6DirectENS_3hip11IndexGlobalILNS_9named_dimE0ELi256ELi0EEENS7_40AvoidDeviceMaxThreadOccupancyConcretizerINS7_34FractionOffsetOccupancyConcretizerINS_8FractionImLm1ELm1EEELln1EEEEELb1EEENS_9Iterators16numeric_iteratorIllPlEEZN8rajaperf9algorithm10REDUCE_SUM17runHipVariantRAJAILm256ENSM_13gpu_algorithm19block_device_helperENSM_11gpu_mapping20global_direct_helperEEEvNSM_9VariantIDEEUllE_lNS_4expt15ForallParamPackIJEEES6_SA_TnNSt9enable_ifIXaasr3std10is_base_ofINS5_10DirectBaseET4_EE5valuegtsrT5_10block_sizeLi0EEmE4typeELm256EEEvT1_T0_T2_T3_, .Lfunc_end12-_ZN4RAJA6policy3hip4impl18forallp_hip_kernelINS1_8hip_execINS_17iteration_mapping6DirectENS_3hip11IndexGlobalILNS_9named_dimE0ELi256ELi0EEENS7_40AvoidDeviceMaxThreadOccupancyConcretizerINS7_34FractionOffsetOccupancyConcretizerINS_8FractionImLm1ELm1EEELln1EEEEELb1EEENS_9Iterators16numeric_iteratorIllPlEEZN8rajaperf9algorithm10REDUCE_SUM17runHipVariantRAJAILm256ENSM_13gpu_algorithm19block_device_helperENSM_11gpu_mapping20global_direct_helperEEEvNSM_9VariantIDEEUllE_lNS_4expt15ForallParamPackIJEEES6_SA_TnNSt9enable_ifIXaasr3std10is_base_ofINS5_10DirectBaseET4_EE5valuegtsrT5_10block_sizeLi0EEmE4typeELm256EEEvT1_T0_T2_T3_
                                        ; -- End function
	.section	.AMDGPU.csdata,"",@progbits
; Kernel info:
; codeLenInByte = 5032
; NumSgprs: 24
; NumVgprs: 21
; ScratchSize: 0
; MemoryBound: 0
; FloatMode: 240
; IeeeMode: 1
; LDSByteSize: 129 bytes/workgroup (compile time only)
; SGPRBlocks: 2
; VGPRBlocks: 2
; NumSGPRsForWavesPerEU: 24
; NumVGPRsForWavesPerEU: 21
; Occupancy: 16
; WaveLimiterHint : 0
; COMPUTE_PGM_RSRC2:SCRATCH_EN: 0
; COMPUTE_PGM_RSRC2:USER_SGPR: 13
; COMPUTE_PGM_RSRC2:TRAP_HANDLER: 0
; COMPUTE_PGM_RSRC2:TGID_X_EN: 1
; COMPUTE_PGM_RSRC2:TGID_Y_EN: 1
; COMPUTE_PGM_RSRC2:TGID_Z_EN: 1
; COMPUTE_PGM_RSRC2:TIDIG_COMP_CNT: 2
	.section	.text._ZN4RAJA6policy3hip4impl18forallp_hip_kernelINS1_8hip_execINS_17iteration_mapping6DirectENS_3hip11IndexGlobalILNS_9named_dimE0ELi256ELi0EEENS7_40AvoidDeviceMaxThreadOccupancyConcretizerINS7_34FractionOffsetOccupancyConcretizerINS_8FractionImLm1ELm1EEELln1EEEEELb1EEENS_9Iterators16numeric_iteratorIllPlEEZN8rajaperf9algorithm10REDUCE_SUM26runHipVariantRAJANewReduceILm256ENSM_11gpu_mapping20global_direct_helperEEEvNSM_9VariantIDEEUllRNS_4expt5ValOpIdNS_9operators4plusEEEE_lNST_15ForallParamPackIJNST_6detail7ReducerINSW_IdddEEdSX_EEEEES6_SA_TnNSt9enable_ifIXaasr3std10is_base_ofINS5_10DirectBaseET4_EE5valuegtsrT5_10block_sizeLi0EEmE4typeELm256EEEvT1_T0_T2_T3_,"axG",@progbits,_ZN4RAJA6policy3hip4impl18forallp_hip_kernelINS1_8hip_execINS_17iteration_mapping6DirectENS_3hip11IndexGlobalILNS_9named_dimE0ELi256ELi0EEENS7_40AvoidDeviceMaxThreadOccupancyConcretizerINS7_34FractionOffsetOccupancyConcretizerINS_8FractionImLm1ELm1EEELln1EEEEELb1EEENS_9Iterators16numeric_iteratorIllPlEEZN8rajaperf9algorithm10REDUCE_SUM26runHipVariantRAJANewReduceILm256ENSM_11gpu_mapping20global_direct_helperEEEvNSM_9VariantIDEEUllRNS_4expt5ValOpIdNS_9operators4plusEEEE_lNST_15ForallParamPackIJNST_6detail7ReducerINSW_IdddEEdSX_EEEEES6_SA_TnNSt9enable_ifIXaasr3std10is_base_ofINS5_10DirectBaseET4_EE5valuegtsrT5_10block_sizeLi0EEmE4typeELm256EEEvT1_T0_T2_T3_,comdat
	.protected	_ZN4RAJA6policy3hip4impl18forallp_hip_kernelINS1_8hip_execINS_17iteration_mapping6DirectENS_3hip11IndexGlobalILNS_9named_dimE0ELi256ELi0EEENS7_40AvoidDeviceMaxThreadOccupancyConcretizerINS7_34FractionOffsetOccupancyConcretizerINS_8FractionImLm1ELm1EEELln1EEEEELb1EEENS_9Iterators16numeric_iteratorIllPlEEZN8rajaperf9algorithm10REDUCE_SUM26runHipVariantRAJANewReduceILm256ENSM_11gpu_mapping20global_direct_helperEEEvNSM_9VariantIDEEUllRNS_4expt5ValOpIdNS_9operators4plusEEEE_lNST_15ForallParamPackIJNST_6detail7ReducerINSW_IdddEEdSX_EEEEES6_SA_TnNSt9enable_ifIXaasr3std10is_base_ofINS5_10DirectBaseET4_EE5valuegtsrT5_10block_sizeLi0EEmE4typeELm256EEEvT1_T0_T2_T3_ ; -- Begin function _ZN4RAJA6policy3hip4impl18forallp_hip_kernelINS1_8hip_execINS_17iteration_mapping6DirectENS_3hip11IndexGlobalILNS_9named_dimE0ELi256ELi0EEENS7_40AvoidDeviceMaxThreadOccupancyConcretizerINS7_34FractionOffsetOccupancyConcretizerINS_8FractionImLm1ELm1EEELln1EEEEELb1EEENS_9Iterators16numeric_iteratorIllPlEEZN8rajaperf9algorithm10REDUCE_SUM26runHipVariantRAJANewReduceILm256ENSM_11gpu_mapping20global_direct_helperEEEvNSM_9VariantIDEEUllRNS_4expt5ValOpIdNS_9operators4plusEEEE_lNST_15ForallParamPackIJNST_6detail7ReducerINSW_IdddEEdSX_EEEEES6_SA_TnNSt9enable_ifIXaasr3std10is_base_ofINS5_10DirectBaseET4_EE5valuegtsrT5_10block_sizeLi0EEmE4typeELm256EEEvT1_T0_T2_T3_
	.globl	_ZN4RAJA6policy3hip4impl18forallp_hip_kernelINS1_8hip_execINS_17iteration_mapping6DirectENS_3hip11IndexGlobalILNS_9named_dimE0ELi256ELi0EEENS7_40AvoidDeviceMaxThreadOccupancyConcretizerINS7_34FractionOffsetOccupancyConcretizerINS_8FractionImLm1ELm1EEELln1EEEEELb1EEENS_9Iterators16numeric_iteratorIllPlEEZN8rajaperf9algorithm10REDUCE_SUM26runHipVariantRAJANewReduceILm256ENSM_11gpu_mapping20global_direct_helperEEEvNSM_9VariantIDEEUllRNS_4expt5ValOpIdNS_9operators4plusEEEE_lNST_15ForallParamPackIJNST_6detail7ReducerINSW_IdddEEdSX_EEEEES6_SA_TnNSt9enable_ifIXaasr3std10is_base_ofINS5_10DirectBaseET4_EE5valuegtsrT5_10block_sizeLi0EEmE4typeELm256EEEvT1_T0_T2_T3_
	.p2align	8
	.type	_ZN4RAJA6policy3hip4impl18forallp_hip_kernelINS1_8hip_execINS_17iteration_mapping6DirectENS_3hip11IndexGlobalILNS_9named_dimE0ELi256ELi0EEENS7_40AvoidDeviceMaxThreadOccupancyConcretizerINS7_34FractionOffsetOccupancyConcretizerINS_8FractionImLm1ELm1EEELln1EEEEELb1EEENS_9Iterators16numeric_iteratorIllPlEEZN8rajaperf9algorithm10REDUCE_SUM26runHipVariantRAJANewReduceILm256ENSM_11gpu_mapping20global_direct_helperEEEvNSM_9VariantIDEEUllRNS_4expt5ValOpIdNS_9operators4plusEEEE_lNST_15ForallParamPackIJNST_6detail7ReducerINSW_IdddEEdSX_EEEEES6_SA_TnNSt9enable_ifIXaasr3std10is_base_ofINS5_10DirectBaseET4_EE5valuegtsrT5_10block_sizeLi0EEmE4typeELm256EEEvT1_T0_T2_T3_,@function
_ZN4RAJA6policy3hip4impl18forallp_hip_kernelINS1_8hip_execINS_17iteration_mapping6DirectENS_3hip11IndexGlobalILNS_9named_dimE0ELi256ELi0EEENS7_40AvoidDeviceMaxThreadOccupancyConcretizerINS7_34FractionOffsetOccupancyConcretizerINS_8FractionImLm1ELm1EEELln1EEEEELb1EEENS_9Iterators16numeric_iteratorIllPlEEZN8rajaperf9algorithm10REDUCE_SUM26runHipVariantRAJANewReduceILm256ENSM_11gpu_mapping20global_direct_helperEEEvNSM_9VariantIDEEUllRNS_4expt5ValOpIdNS_9operators4plusEEEE_lNST_15ForallParamPackIJNST_6detail7ReducerINSW_IdddEEdSX_EEEEES6_SA_TnNSt9enable_ifIXaasr3std10is_base_ofINS5_10DirectBaseET4_EE5valuegtsrT5_10block_sizeLi0EEmE4typeELm256EEEvT1_T0_T2_T3_: ; @_ZN4RAJA6policy3hip4impl18forallp_hip_kernelINS1_8hip_execINS_17iteration_mapping6DirectENS_3hip11IndexGlobalILNS_9named_dimE0ELi256ELi0EEENS7_40AvoidDeviceMaxThreadOccupancyConcretizerINS7_34FractionOffsetOccupancyConcretizerINS_8FractionImLm1ELm1EEELln1EEEEELb1EEENS_9Iterators16numeric_iteratorIllPlEEZN8rajaperf9algorithm10REDUCE_SUM26runHipVariantRAJANewReduceILm256ENSM_11gpu_mapping20global_direct_helperEEEvNSM_9VariantIDEEUllRNS_4expt5ValOpIdNS_9operators4plusEEEE_lNST_15ForallParamPackIJNST_6detail7ReducerINSW_IdddEEdSX_EEEEES6_SA_TnNSt9enable_ifIXaasr3std10is_base_ofINS5_10DirectBaseET4_EE5valuegtsrT5_10block_sizeLi0EEmE4typeELm256EEEvT1_T0_T2_T3_
; %bb.0:
	s_load_b256 s[4:11], s[0:1], 0x0
	v_and_b32_e32 v1, 0x3ff, v0
	s_mov_b32 s12, s15
	s_mov_b32 s13, 0
	s_delay_alu instid0(SALU_CYCLE_1)
	s_lshl_b64 s[2:3], s[12:13], 8
	s_waitcnt lgkmcnt(0)
	v_dual_mov_b32 v5, s3 :: v_dual_mov_b32 v2, s10
	v_or_b32_e32 v4, s2, v1
	v_mov_b32_e32 v3, s11
	s_mov_b32 s2, exec_lo
	s_delay_alu instid0(VALU_DEP_2)
	v_cmpx_gt_i64_e64 s[8:9], v[4:5]
	s_cbranch_execz .LBB13_2
; %bb.1:
	v_lshlrev_b64 v[2:3], 3, v[4:5]
	s_lshl_b64 s[6:7], s[6:7], 3
	s_delay_alu instid0(SALU_CYCLE_1) | instskip(SKIP_1) | instid1(VALU_DEP_1)
	s_add_u32 s3, s6, s4
	s_addc_u32 s4, s7, s5
	v_add_co_u32 v2, vcc_lo, s3, v2
	s_delay_alu instid0(VALU_DEP_2)
	v_add_co_ci_u32_e32 v3, vcc_lo, s4, v3, vcc_lo
	global_load_b64 v[2:3], v[2:3], off
	s_waitcnt vmcnt(0)
	v_add_f64 v[2:3], s[10:11], v[2:3]
.LBB13_2:
	s_or_b32 exec_lo, exec_lo, s2
	v_mbcnt_lo_u32_b32 v4, -1, 0
	s_clause 0x1
	s_load_b128 s[4:7], s[0:1], 0x28
	s_load_b64 s[2:3], s[0:1], 0x38
	s_add_u32 s8, s0, 64
	s_addc_u32 s9, s1, 0
	v_xor_b32_e32 v5, 1, v4
	s_delay_alu instid0(VALU_DEP_1) | instskip(SKIP_1) | instid1(VALU_DEP_1)
	v_cmp_gt_i32_e32 vcc_lo, 32, v5
	v_cndmask_b32_e32 v5, v4, v5, vcc_lo
	v_lshlrev_b32_e32 v6, 2, v5
	ds_bpermute_b32 v5, v6, v3
	ds_bpermute_b32 v7, v6, v2
	s_waitcnt lgkmcnt(0)
	v_and_b32_e32 v8, 0xff, v5
	v_and_b32_e32 v9, 0xff00, v5
	;; [unrolled: 1-line block ×4, first 2 shown]
	v_or3_b32 v7, v7, 0, 0
	s_delay_alu instid0(VALU_DEP_4) | instskip(NEXT) | instid1(VALU_DEP_1)
	v_or_b32_e32 v8, v8, v9
	v_or3_b32 v8, v8, v10, v5
	v_xor_b32_e32 v5, 2, v4
	s_delay_alu instid0(VALU_DEP_2) | instskip(NEXT) | instid1(VALU_DEP_2)
	v_add_f64 v[2:3], v[2:3], v[7:8]
	v_cmp_gt_i32_e32 vcc_lo, 32, v5
	v_cndmask_b32_e32 v5, v4, v5, vcc_lo
	s_delay_alu instid0(VALU_DEP_1)
	v_lshlrev_b32_e32 v7, 2, v5
	ds_bpermute_b32 v5, v7, v3
	ds_bpermute_b32 v8, v7, v2
	s_waitcnt lgkmcnt(1)
	v_and_b32_e32 v9, 0xff, v5
	v_and_b32_e32 v10, 0xff00, v5
	v_and_b32_e32 v11, 0xff0000, v5
	v_and_b32_e32 v5, 0xff000000, v5
	s_waitcnt lgkmcnt(0)
	v_or3_b32 v8, v8, 0, 0
	v_or_b32_e32 v9, v9, v10
	s_delay_alu instid0(VALU_DEP_1) | instskip(SKIP_1) | instid1(VALU_DEP_2)
	v_or3_b32 v9, v9, v11, v5
	v_xor_b32_e32 v5, 4, v4
	v_add_f64 v[2:3], v[2:3], v[8:9]
	s_delay_alu instid0(VALU_DEP_2) | instskip(SKIP_1) | instid1(VALU_DEP_1)
	v_cmp_gt_i32_e32 vcc_lo, 32, v5
	v_cndmask_b32_e32 v5, v4, v5, vcc_lo
	v_lshlrev_b32_e32 v8, 2, v5
	ds_bpermute_b32 v5, v8, v3
	ds_bpermute_b32 v9, v8, v2
	s_waitcnt lgkmcnt(1)
	v_and_b32_e32 v10, 0xff, v5
	v_and_b32_e32 v11, 0xff00, v5
	v_and_b32_e32 v12, 0xff0000, v5
	v_and_b32_e32 v5, 0xff000000, v5
	s_waitcnt lgkmcnt(0)
	v_or3_b32 v9, v9, 0, 0
	v_or_b32_e32 v10, v10, v11
	s_delay_alu instid0(VALU_DEP_1) | instskip(SKIP_1) | instid1(VALU_DEP_2)
	v_or3_b32 v10, v10, v12, v5
	v_xor_b32_e32 v5, 8, v4
	v_add_f64 v[2:3], v[2:3], v[9:10]
	s_delay_alu instid0(VALU_DEP_2) | instskip(SKIP_1) | instid1(VALU_DEP_1)
	v_cmp_gt_i32_e32 vcc_lo, 32, v5
	v_cndmask_b32_e32 v5, v4, v5, vcc_lo
	;; [unrolled: 18-line block ×3, first 2 shown]
	v_lshlrev_b32_e32 v11, 2, v5
	ds_bpermute_b32 v5, v11, v3
	ds_bpermute_b32 v10, v11, v2
	s_waitcnt lgkmcnt(1)
	v_and_b32_e32 v12, 0xff, v5
	v_and_b32_e32 v13, 0xff00, v5
	;; [unrolled: 1-line block ×4, first 2 shown]
	s_delay_alu instid0(VALU_DEP_3) | instskip(SKIP_2) | instid1(VALU_DEP_2)
	v_or_b32_e32 v13, v12, v13
	s_waitcnt lgkmcnt(0)
	v_or3_b32 v12, v10, 0, 0
	v_or3_b32 v13, v13, v14, v5
	v_or_b32_e32 v5, 32, v4
	s_delay_alu instid0(VALU_DEP_2) | instskip(NEXT) | instid1(VALU_DEP_2)
	v_add_f64 v[2:3], v[2:3], v[12:13]
	v_cmp_gt_i32_e32 vcc_lo, 32, v5
	v_cndmask_b32_e32 v5, v4, v5, vcc_lo
	s_delay_alu instid0(VALU_DEP_1)
	v_lshlrev_b32_e32 v12, 2, v5
	ds_bpermute_b32 v5, v12, v3
	ds_bpermute_b32 v10, v12, v2
	s_waitcnt lgkmcnt(1)
	v_and_b32_e32 v13, 0xff, v5
	v_and_b32_e32 v14, 0xff00, v5
	;; [unrolled: 1-line block ×4, first 2 shown]
	s_delay_alu instid0(VALU_DEP_3) | instskip(NEXT) | instid1(VALU_DEP_1)
	v_or_b32_e32 v13, v13, v14
	v_or3_b32 v14, v13, v15, v5
	s_waitcnt lgkmcnt(0)
	v_or3_b32 v13, v10, 0, 0
	v_and_b32_e32 v10, 63, v1
	s_delay_alu instid0(VALU_DEP_2) | instskip(NEXT) | instid1(VALU_DEP_2)
	v_add_f64 v[2:3], v[2:3], v[13:14]
	v_cmp_eq_u32_e32 vcc_lo, 0, v10
	s_and_saveexec_b32 s10, vcc_lo
	s_cbranch_execz .LBB13_4
; %bb.3:
	v_lshrrev_b32_e32 v5, 3, v1
	ds_store_b64 v5, v[2:3] offset:256
.LBB13_4:
	s_or_b32 exec_lo, exec_lo, s10
	s_load_b32 s10, s[0:1], 0x40
	v_cmp_gt_u32_e64 s0, 64, v1
	s_waitcnt lgkmcnt(0)
	s_barrier
	buffer_gl0_inv
	s_and_saveexec_b32 s11, s0
	s_cbranch_execz .LBB13_8
; %bb.5:
	v_mov_b32_e32 v2, 0
	v_mov_b32_e32 v3, 0
	s_mov_b32 s13, exec_lo
	v_cmpx_gt_u32_e32 4, v10
	s_cbranch_execz .LBB13_7
; %bb.6:
	v_lshlrev_b32_e32 v2, 3, v10
	ds_load_b64 v[2:3], v2 offset:256
.LBB13_7:
	s_or_b32 exec_lo, exec_lo, s13
	s_waitcnt lgkmcnt(0)
	ds_bpermute_b32 v5, v6, v3
	ds_bpermute_b32 v13, v6, v2
	s_waitcnt lgkmcnt(1)
	v_and_b32_e32 v14, 0xff, v5
	v_and_b32_e32 v15, 0xff00, v5
	v_and_b32_e32 v16, 0xff0000, v5
	v_and_b32_e32 v5, 0xff000000, v5
	s_waitcnt lgkmcnt(0)
	v_or3_b32 v13, v13, 0, 0
	v_or_b32_e32 v14, v14, v15
	s_delay_alu instid0(VALU_DEP_1) | instskip(NEXT) | instid1(VALU_DEP_1)
	v_or3_b32 v14, v14, v16, v5
	v_add_f64 v[2:3], v[2:3], v[13:14]
	ds_bpermute_b32 v5, v7, v3
	ds_bpermute_b32 v13, v7, v2
	s_waitcnt lgkmcnt(1)
	v_and_b32_e32 v14, 0xff, v5
	v_and_b32_e32 v15, 0xff00, v5
	v_and_b32_e32 v16, 0xff0000, v5
	v_and_b32_e32 v5, 0xff000000, v5
	s_waitcnt lgkmcnt(0)
	v_or3_b32 v13, v13, 0, 0
	v_or_b32_e32 v14, v14, v15
	s_delay_alu instid0(VALU_DEP_1) | instskip(NEXT) | instid1(VALU_DEP_1)
	v_or3_b32 v14, v14, v16, v5
	v_add_f64 v[2:3], v[2:3], v[13:14]
	;; [unrolled: 13-line block ×4, first 2 shown]
.LBB13_8:
	s_or_b32 exec_lo, exec_lo, s11
	v_cmp_eq_u32_e64 s1, 0, v1
	v_mov_b32_e32 v5, 0
	v_mov_b32_e32 v13, 0
	s_barrier
	buffer_gl0_inv
	s_and_saveexec_b32 s11, s1
	s_cbranch_execz .LBB13_10
; %bb.9:
	s_ashr_i32 s13, s12, 31
	s_delay_alu instid0(SALU_CYCLE_1) | instskip(SKIP_1) | instid1(SALU_CYCLE_1)
	s_lshl_b64 s[14:15], s[12:13], 3
	s_add_i32 s13, s10, -1
	v_dual_mov_b32 v13, 0 :: v_dual_mov_b32 v14, s13
	s_add_u32 s14, s6, s14
	s_addc_u32 s15, s7, s15
	global_store_b64 v13, v[2:3], s[14:15]
	s_waitcnt_vscnt null, 0x0
	buffer_gl1_inv
	buffer_gl0_inv
	global_atomic_inc_u32 v2, v13, v14, s[2:3] glc
	s_waitcnt vmcnt(0)
	v_cmp_eq_u32_e64 s2, s13, v2
	s_delay_alu instid0(VALU_DEP_1)
	v_cndmask_b32_e64 v13, 0, 1, s2
.LBB13_10:
	s_or_b32 exec_lo, exec_lo, s11
	global_load_b32 v2, v5, s[8:9] offset:14
	s_waitcnt vmcnt(0)
	v_readfirstlane_b32 s2, v2
	v_or_b32_dpp v2, v13, v13 row_shl:1 row_mask:0xf bank_mask:0xf bound_ctrl:1
	s_delay_alu instid0(VALU_DEP_2) | instskip(SKIP_2) | instid1(VALU_DEP_1)
	s_lshr_b32 s3, s2, 16
	s_and_b32 s2, s2, 0xffff
	s_cmp_lt_u32 s12, s10
	v_or_b32_dpp v2, v2, v2 row_shl:2 row_mask:0xf bank_mask:0xf bound_ctrl:1
	s_cselect_b32 s11, 12, 18
	s_delay_alu instid0(SALU_CYCLE_1) | instskip(SKIP_1) | instid1(VALU_DEP_1)
	s_add_u32 s8, s8, s11
	s_addc_u32 s9, s9, 0
	v_or_b32_dpp v2, v2, v2 row_shl:4 row_mask:0xf bank_mask:0xf bound_ctrl:1
	global_load_u16 v14, v5, s[8:9]
	v_or_b32_dpp v2, v2, v2 row_shl:8 row_mask:0xf bank_mask:0xf bound_ctrl:1
	s_delay_alu instid0(VALU_DEP_1) | instskip(NEXT) | instid1(VALU_DEP_1)
	v_mov_b32_dpp v2, v2 row_share:0 row_mask:0xf bank_mask:0xf bound_ctrl:1
	v_permlanex16_b32 v3, v2, 0, 0 op_sel:[0,1]
	s_delay_alu instid0(VALU_DEP_1) | instskip(SKIP_2) | instid1(VALU_DEP_1)
	v_or_b32_e32 v5, v3, v2
	s_waitcnt vmcnt(0)
	v_readfirstlane_b32 s8, v14
	s_mul_i32 s8, s2, s8
	s_delay_alu instid0(SALU_CYCLE_1) | instskip(NEXT) | instid1(SALU_CYCLE_1)
	s_bfe_i32 s8, s8, 0x180000
	s_mul_i32 s3, s8, s3
	s_delay_alu instid0(SALU_CYCLE_1) | instskip(NEXT) | instid1(SALU_CYCLE_1)
	s_add_i32 s3, s3, 31
	s_and_not1_b32 s3, s3, 31
	s_delay_alu instid0(SALU_CYCLE_1)
	s_cmp_eq_u32 s3, 32
	s_cbranch_scc1 .LBB13_19
; %bb.11:
	v_bfe_u32 v2, v0, 10, 10
	v_bfe_u32 v0, v0, 20, 10
	s_mov_b32 s3, exec_lo
	s_delay_alu instid0(VALU_DEP_1) | instskip(NEXT) | instid1(VALU_DEP_1)
	v_mad_u32_u24 v0, v0, s2, v2
	v_mad_u64_u32 v[2:3], null, v0, v14, v[1:2]
	s_delay_alu instid0(VALU_DEP_1) | instskip(NEXT) | instid1(VALU_DEP_1)
	v_lshrrev_b32_e32 v0, 5, v2
	v_or_b32_e32 v0, v0, v4
	s_delay_alu instid0(VALU_DEP_1)
	v_cmpx_eq_u32_e32 0, v0
	s_cbranch_execz .LBB13_13
; %bb.12:
	v_mov_b32_e32 v0, 0
	ds_store_b32 v0, v5
.LBB13_13:
	s_or_b32 exec_lo, exec_lo, s3
	v_cmp_eq_u32_e64 s2, 0, v4
	v_cmp_lt_u32_e64 s3, 31, v2
	s_waitcnt lgkmcnt(0)
	s_barrier
	buffer_gl0_inv
	s_and_b32 s2, s2, s3
	s_delay_alu instid0(SALU_CYCLE_1)
	s_and_saveexec_b32 s3, s2
	s_cbranch_execz .LBB13_18
; %bb.14:
	s_mov_b32 s2, exec_lo
	s_mov_b32 s8, 0
.LBB13_15:                              ; =>This Inner Loop Header: Depth=1
	s_ctz_i32_b32 s9, s2
	s_delay_alu instid0(SALU_CYCLE_1) | instskip(SKIP_1) | instid1(SALU_CYCLE_1)
	v_readlane_b32 s11, v5, s9
	s_lshl_b32 s9, 1, s9
	s_and_not1_b32 s2, s2, s9
	s_delay_alu instid0(VALU_DEP_1)
	s_or_b32 s8, s8, s11
	s_cmp_lg_u32 s2, 0
	s_cbranch_scc1 .LBB13_15
; %bb.16:
	v_mbcnt_lo_u32_b32 v0, exec_lo, 0
	s_mov_b32 s9, exec_lo
	s_delay_alu instid0(VALU_DEP_1)
	v_cmpx_eq_u32_e32 0, v0
	s_xor_b32 s9, exec_lo, s9
	s_cbranch_execz .LBB13_18
; %bb.17:
	v_mov_b32_e32 v0, 0
	v_mov_b32_e32 v2, s8
	ds_or_b32 v0, v2
.LBB13_18:
	s_or_b32 exec_lo, exec_lo, s3
	v_mov_b32_e32 v0, 0
	s_waitcnt lgkmcnt(0)
	s_barrier
	buffer_gl0_inv
	ds_load_b32 v5, v0
	s_waitcnt lgkmcnt(0)
	s_barrier
	buffer_gl0_inv
.LBB13_19:
	s_mov_b32 s3, exec_lo
	v_cmpx_ne_u32_e32 0, v5
	s_cbranch_execz .LBB13_32
; %bb.20:
	v_mov_b32_e32 v2, 0
	v_mov_b32_e32 v3, 0
	s_mov_b32 s8, exec_lo
	buffer_gl1_inv
	buffer_gl0_inv
	v_cmpx_gt_i32_e64 s10, v1
	s_cbranch_execz .LBB13_24
; %bb.21:
	v_lshlrev_b32_e32 v0, 3, v1
	v_mov_b32_e32 v2, 0
	v_mov_b32_e32 v3, 0
	s_delay_alu instid0(VALU_DEP_3) | instskip(NEXT) | instid1(VALU_DEP_1)
	v_add_co_u32 v4, s2, s6, v0
	v_add_co_ci_u32_e64 v5, null, s7, 0, s2
	v_mov_b32_e32 v0, v1
	s_mov_b32 s6, 0
.LBB13_22:                              ; =>This Inner Loop Header: Depth=1
	global_load_b64 v[13:14], v[4:5], off
	v_add_nc_u32_e32 v0, 0x100, v0
	v_add_co_u32 v4, s3, 0x800, v4
	s_delay_alu instid0(VALU_DEP_1) | instskip(NEXT) | instid1(VALU_DEP_3)
	v_add_co_ci_u32_e64 v5, s3, 0, v5, s3
	v_cmp_le_i32_e64 s2, s10, v0
	s_delay_alu instid0(VALU_DEP_1)
	s_or_b32 s6, s2, s6
	s_waitcnt vmcnt(0)
	v_add_f64 v[2:3], v[2:3], v[13:14]
	s_and_not1_b32 exec_lo, exec_lo, s6
	s_cbranch_execnz .LBB13_22
; %bb.23:
	s_or_b32 exec_lo, exec_lo, s6
.LBB13_24:
	s_delay_alu instid0(SALU_CYCLE_1)
	s_or_b32 exec_lo, exec_lo, s8
	ds_bpermute_b32 v0, v6, v3
	ds_bpermute_b32 v4, v6, v2
	s_waitcnt lgkmcnt(1)
	v_and_b32_e32 v5, 0xff, v0
	v_and_b32_e32 v13, 0xff00, v0
	v_and_b32_e32 v14, 0xff0000, v0
	v_and_b32_e32 v0, 0xff000000, v0
	s_waitcnt lgkmcnt(0)
	v_or3_b32 v4, v4, 0, 0
	v_or_b32_e32 v5, v5, v13
	s_delay_alu instid0(VALU_DEP_1) | instskip(NEXT) | instid1(VALU_DEP_1)
	v_or3_b32 v5, v5, v14, v0
	v_add_f64 v[2:3], v[2:3], v[4:5]
	ds_bpermute_b32 v0, v7, v3
	ds_bpermute_b32 v4, v7, v2
	s_waitcnt lgkmcnt(1)
	v_and_b32_e32 v5, 0xff, v0
	v_and_b32_e32 v13, 0xff00, v0
	v_and_b32_e32 v14, 0xff0000, v0
	v_and_b32_e32 v0, 0xff000000, v0
	s_waitcnt lgkmcnt(0)
	v_or3_b32 v4, v4, 0, 0
	v_or_b32_e32 v5, v5, v13
	s_delay_alu instid0(VALU_DEP_1) | instskip(NEXT) | instid1(VALU_DEP_1)
	v_or3_b32 v5, v5, v14, v0
	v_add_f64 v[2:3], v[2:3], v[4:5]
	;; [unrolled: 13-line block ×6, first 2 shown]
	s_and_saveexec_b32 s2, vcc_lo
	s_cbranch_execz .LBB13_26
; %bb.25:
	v_lshrrev_b32_e32 v0, 3, v1
	ds_store_b64 v0, v[2:3] offset:256
.LBB13_26:
	s_or_b32 exec_lo, exec_lo, s2
	s_waitcnt lgkmcnt(0)
	s_barrier
	buffer_gl0_inv
	s_and_saveexec_b32 s2, s0
	s_cbranch_execz .LBB13_30
; %bb.27:
	v_mov_b32_e32 v0, 0
	v_mov_b32_e32 v1, 0
	s_mov_b32 s0, exec_lo
	v_cmpx_gt_u32_e32 4, v10
	s_cbranch_execz .LBB13_29
; %bb.28:
	v_lshlrev_b32_e32 v0, 3, v10
	ds_load_b64 v[0:1], v0 offset:256
.LBB13_29:
	s_or_b32 exec_lo, exec_lo, s0
	s_waitcnt lgkmcnt(0)
	ds_bpermute_b32 v2, v6, v1
	ds_bpermute_b32 v3, v6, v0
	s_waitcnt lgkmcnt(1)
	v_and_b32_e32 v4, 0xff, v2
	v_and_b32_e32 v5, 0xff00, v2
	v_and_b32_e32 v6, 0xff0000, v2
	v_and_b32_e32 v10, 0xff000000, v2
	s_waitcnt lgkmcnt(0)
	v_or3_b32 v2, v3, 0, 0
	v_or_b32_e32 v4, v4, v5
	s_delay_alu instid0(VALU_DEP_1) | instskip(NEXT) | instid1(VALU_DEP_1)
	v_or3_b32 v3, v4, v6, v10
	v_add_f64 v[0:1], v[0:1], v[2:3]
	ds_bpermute_b32 v2, v7, v1
	ds_bpermute_b32 v3, v7, v0
	s_waitcnt lgkmcnt(1)
	v_and_b32_e32 v4, 0xff, v2
	v_and_b32_e32 v5, 0xff00, v2
	v_and_b32_e32 v6, 0xff0000, v2
	v_and_b32_e32 v7, 0xff000000, v2
	s_waitcnt lgkmcnt(0)
	v_or3_b32 v2, v3, 0, 0
	v_or_b32_e32 v4, v4, v5
	s_delay_alu instid0(VALU_DEP_1) | instskip(NEXT) | instid1(VALU_DEP_1)
	v_or3_b32 v3, v4, v6, v7
	v_add_f64 v[0:1], v[0:1], v[2:3]
	;; [unrolled: 13-line block ×3, first 2 shown]
	ds_bpermute_b32 v2, v9, v1
	ds_bpermute_b32 v4, v9, v0
	s_waitcnt lgkmcnt(1)
	v_and_b32_e32 v3, 0xff, v2
	v_and_b32_e32 v5, 0xff00, v2
	;; [unrolled: 1-line block ×4, first 2 shown]
	s_delay_alu instid0(VALU_DEP_3) | instskip(NEXT) | instid1(VALU_DEP_1)
	v_or_b32_e32 v3, v3, v5
	v_or3_b32 v3, v3, v6, v2
	s_waitcnt lgkmcnt(0)
	v_or3_b32 v2, v4, 0, 0
	s_delay_alu instid0(VALU_DEP_1)
	v_add_f64 v[2:3], v[0:1], v[2:3]
.LBB13_30:
	s_or_b32 exec_lo, exec_lo, s2
	s_barrier
	buffer_gl0_inv
	s_and_b32 exec_lo, exec_lo, s1
	s_cbranch_execz .LBB13_32
; %bb.31:
	v_mov_b32_e32 v0, 0
	global_store_b64 v0, v[2:3], s[4:5]
.LBB13_32:
	s_nop 0
	s_sendmsg sendmsg(MSG_DEALLOC_VGPRS)
	s_endpgm
	.section	.rodata,"a",@progbits
	.p2align	6, 0x0
	.amdhsa_kernel _ZN4RAJA6policy3hip4impl18forallp_hip_kernelINS1_8hip_execINS_17iteration_mapping6DirectENS_3hip11IndexGlobalILNS_9named_dimE0ELi256ELi0EEENS7_40AvoidDeviceMaxThreadOccupancyConcretizerINS7_34FractionOffsetOccupancyConcretizerINS_8FractionImLm1ELm1EEELln1EEEEELb1EEENS_9Iterators16numeric_iteratorIllPlEEZN8rajaperf9algorithm10REDUCE_SUM26runHipVariantRAJANewReduceILm256ENSM_11gpu_mapping20global_direct_helperEEEvNSM_9VariantIDEEUllRNS_4expt5ValOpIdNS_9operators4plusEEEE_lNST_15ForallParamPackIJNST_6detail7ReducerINSW_IdddEEdSX_EEEEES6_SA_TnNSt9enable_ifIXaasr3std10is_base_ofINS5_10DirectBaseET4_EE5valuegtsrT5_10block_sizeLi0EEmE4typeELm256EEEvT1_T0_T2_T3_
		.amdhsa_group_segment_fixed_size 384
		.amdhsa_private_segment_fixed_size 0
		.amdhsa_kernarg_size 320
		.amdhsa_user_sgpr_count 15
		.amdhsa_user_sgpr_dispatch_ptr 0
		.amdhsa_user_sgpr_queue_ptr 0
		.amdhsa_user_sgpr_kernarg_segment_ptr 1
		.amdhsa_user_sgpr_dispatch_id 0
		.amdhsa_user_sgpr_private_segment_size 0
		.amdhsa_wavefront_size32 1
		.amdhsa_uses_dynamic_stack 0
		.amdhsa_enable_private_segment 0
		.amdhsa_system_sgpr_workgroup_id_x 1
		.amdhsa_system_sgpr_workgroup_id_y 0
		.amdhsa_system_sgpr_workgroup_id_z 0
		.amdhsa_system_sgpr_workgroup_info 0
		.amdhsa_system_vgpr_workitem_id 2
		.amdhsa_next_free_vgpr 17
		.amdhsa_next_free_sgpr 16
		.amdhsa_reserve_vcc 1
		.amdhsa_float_round_mode_32 0
		.amdhsa_float_round_mode_16_64 0
		.amdhsa_float_denorm_mode_32 3
		.amdhsa_float_denorm_mode_16_64 3
		.amdhsa_dx10_clamp 1
		.amdhsa_ieee_mode 1
		.amdhsa_fp16_overflow 0
		.amdhsa_workgroup_processor_mode 1
		.amdhsa_memory_ordered 1
		.amdhsa_forward_progress 0
		.amdhsa_shared_vgpr_count 0
		.amdhsa_exception_fp_ieee_invalid_op 0
		.amdhsa_exception_fp_denorm_src 0
		.amdhsa_exception_fp_ieee_div_zero 0
		.amdhsa_exception_fp_ieee_overflow 0
		.amdhsa_exception_fp_ieee_underflow 0
		.amdhsa_exception_fp_ieee_inexact 0
		.amdhsa_exception_int_div_zero 0
	.end_amdhsa_kernel
	.section	.text._ZN4RAJA6policy3hip4impl18forallp_hip_kernelINS1_8hip_execINS_17iteration_mapping6DirectENS_3hip11IndexGlobalILNS_9named_dimE0ELi256ELi0EEENS7_40AvoidDeviceMaxThreadOccupancyConcretizerINS7_34FractionOffsetOccupancyConcretizerINS_8FractionImLm1ELm1EEELln1EEEEELb1EEENS_9Iterators16numeric_iteratorIllPlEEZN8rajaperf9algorithm10REDUCE_SUM26runHipVariantRAJANewReduceILm256ENSM_11gpu_mapping20global_direct_helperEEEvNSM_9VariantIDEEUllRNS_4expt5ValOpIdNS_9operators4plusEEEE_lNST_15ForallParamPackIJNST_6detail7ReducerINSW_IdddEEdSX_EEEEES6_SA_TnNSt9enable_ifIXaasr3std10is_base_ofINS5_10DirectBaseET4_EE5valuegtsrT5_10block_sizeLi0EEmE4typeELm256EEEvT1_T0_T2_T3_,"axG",@progbits,_ZN4RAJA6policy3hip4impl18forallp_hip_kernelINS1_8hip_execINS_17iteration_mapping6DirectENS_3hip11IndexGlobalILNS_9named_dimE0ELi256ELi0EEENS7_40AvoidDeviceMaxThreadOccupancyConcretizerINS7_34FractionOffsetOccupancyConcretizerINS_8FractionImLm1ELm1EEELln1EEEEELb1EEENS_9Iterators16numeric_iteratorIllPlEEZN8rajaperf9algorithm10REDUCE_SUM26runHipVariantRAJANewReduceILm256ENSM_11gpu_mapping20global_direct_helperEEEvNSM_9VariantIDEEUllRNS_4expt5ValOpIdNS_9operators4plusEEEE_lNST_15ForallParamPackIJNST_6detail7ReducerINSW_IdddEEdSX_EEEEES6_SA_TnNSt9enable_ifIXaasr3std10is_base_ofINS5_10DirectBaseET4_EE5valuegtsrT5_10block_sizeLi0EEmE4typeELm256EEEvT1_T0_T2_T3_,comdat
.Lfunc_end13:
	.size	_ZN4RAJA6policy3hip4impl18forallp_hip_kernelINS1_8hip_execINS_17iteration_mapping6DirectENS_3hip11IndexGlobalILNS_9named_dimE0ELi256ELi0EEENS7_40AvoidDeviceMaxThreadOccupancyConcretizerINS7_34FractionOffsetOccupancyConcretizerINS_8FractionImLm1ELm1EEELln1EEEEELb1EEENS_9Iterators16numeric_iteratorIllPlEEZN8rajaperf9algorithm10REDUCE_SUM26runHipVariantRAJANewReduceILm256ENSM_11gpu_mapping20global_direct_helperEEEvNSM_9VariantIDEEUllRNS_4expt5ValOpIdNS_9operators4plusEEEE_lNST_15ForallParamPackIJNST_6detail7ReducerINSW_IdddEEdSX_EEEEES6_SA_TnNSt9enable_ifIXaasr3std10is_base_ofINS5_10DirectBaseET4_EE5valuegtsrT5_10block_sizeLi0EEmE4typeELm256EEEvT1_T0_T2_T3_, .Lfunc_end13-_ZN4RAJA6policy3hip4impl18forallp_hip_kernelINS1_8hip_execINS_17iteration_mapping6DirectENS_3hip11IndexGlobalILNS_9named_dimE0ELi256ELi0EEENS7_40AvoidDeviceMaxThreadOccupancyConcretizerINS7_34FractionOffsetOccupancyConcretizerINS_8FractionImLm1ELm1EEELln1EEEEELb1EEENS_9Iterators16numeric_iteratorIllPlEEZN8rajaperf9algorithm10REDUCE_SUM26runHipVariantRAJANewReduceILm256ENSM_11gpu_mapping20global_direct_helperEEEvNSM_9VariantIDEEUllRNS_4expt5ValOpIdNS_9operators4plusEEEE_lNST_15ForallParamPackIJNST_6detail7ReducerINSW_IdddEEdSX_EEEEES6_SA_TnNSt9enable_ifIXaasr3std10is_base_ofINS5_10DirectBaseET4_EE5valuegtsrT5_10block_sizeLi0EEmE4typeELm256EEEvT1_T0_T2_T3_
                                        ; -- End function
	.section	.AMDGPU.csdata,"",@progbits
; Kernel info:
; codeLenInByte = 3068
; NumSgprs: 18
; NumVgprs: 17
; ScratchSize: 0
; MemoryBound: 0
; FloatMode: 240
; IeeeMode: 1
; LDSByteSize: 384 bytes/workgroup (compile time only)
; SGPRBlocks: 2
; VGPRBlocks: 2
; NumSGPRsForWavesPerEU: 18
; NumVGPRsForWavesPerEU: 17
; Occupancy: 16
; WaveLimiterHint : 0
; COMPUTE_PGM_RSRC2:SCRATCH_EN: 0
; COMPUTE_PGM_RSRC2:USER_SGPR: 15
; COMPUTE_PGM_RSRC2:TRAP_HANDLER: 0
; COMPUTE_PGM_RSRC2:TGID_X_EN: 1
; COMPUTE_PGM_RSRC2:TGID_Y_EN: 0
; COMPUTE_PGM_RSRC2:TGID_Z_EN: 0
; COMPUTE_PGM_RSRC2:TIDIG_COMP_CNT: 2
	.section	.text._ZN4RAJA6policy3hip4impl18forallp_hip_kernelINS1_8hip_execINS_17iteration_mapping11StridedLoopILm0EEENS_3hip11IndexGlobalILNS_9named_dimE0ELi256ELi0EEENS8_40AvoidDeviceMaxThreadOccupancyConcretizerINS8_34FractionOffsetOccupancyConcretizerINS_8FractionImLm1ELm1EEELln1EEEEELb1EEENS_9Iterators16numeric_iteratorIllPlEEZN8rajaperf9algorithm10REDUCE_SUM17runHipVariantRAJAILm256ENSN_13gpu_algorithm19block_atomic_helperENSN_11gpu_mapping40global_loop_occupancy_grid_stride_helperEEEvNSN_9VariantIDEEUllE_lNS_4expt15ForallParamPackIJEEES7_SB_TnNSt9enable_ifIXaaaasr3std10is_base_ofINS5_15StridedLoopBaseET4_EE5valuesr3std10is_base_ofINS5_15UnsizedLoopBaseES12_EE5valuegtsrT5_10block_sizeLi0EEmE4typeELm256EEEvT1_T0_T2_T3_,"axG",@progbits,_ZN4RAJA6policy3hip4impl18forallp_hip_kernelINS1_8hip_execINS_17iteration_mapping11StridedLoopILm0EEENS_3hip11IndexGlobalILNS_9named_dimE0ELi256ELi0EEENS8_40AvoidDeviceMaxThreadOccupancyConcretizerINS8_34FractionOffsetOccupancyConcretizerINS_8FractionImLm1ELm1EEELln1EEEEELb1EEENS_9Iterators16numeric_iteratorIllPlEEZN8rajaperf9algorithm10REDUCE_SUM17runHipVariantRAJAILm256ENSN_13gpu_algorithm19block_atomic_helperENSN_11gpu_mapping40global_loop_occupancy_grid_stride_helperEEEvNSN_9VariantIDEEUllE_lNS_4expt15ForallParamPackIJEEES7_SB_TnNSt9enable_ifIXaaaasr3std10is_base_ofINS5_15StridedLoopBaseET4_EE5valuesr3std10is_base_ofINS5_15UnsizedLoopBaseES12_EE5valuegtsrT5_10block_sizeLi0EEmE4typeELm256EEEvT1_T0_T2_T3_,comdat
	.protected	_ZN4RAJA6policy3hip4impl18forallp_hip_kernelINS1_8hip_execINS_17iteration_mapping11StridedLoopILm0EEENS_3hip11IndexGlobalILNS_9named_dimE0ELi256ELi0EEENS8_40AvoidDeviceMaxThreadOccupancyConcretizerINS8_34FractionOffsetOccupancyConcretizerINS_8FractionImLm1ELm1EEELln1EEEEELb1EEENS_9Iterators16numeric_iteratorIllPlEEZN8rajaperf9algorithm10REDUCE_SUM17runHipVariantRAJAILm256ENSN_13gpu_algorithm19block_atomic_helperENSN_11gpu_mapping40global_loop_occupancy_grid_stride_helperEEEvNSN_9VariantIDEEUllE_lNS_4expt15ForallParamPackIJEEES7_SB_TnNSt9enable_ifIXaaaasr3std10is_base_ofINS5_15StridedLoopBaseET4_EE5valuesr3std10is_base_ofINS5_15UnsizedLoopBaseES12_EE5valuegtsrT5_10block_sizeLi0EEmE4typeELm256EEEvT1_T0_T2_T3_ ; -- Begin function _ZN4RAJA6policy3hip4impl18forallp_hip_kernelINS1_8hip_execINS_17iteration_mapping11StridedLoopILm0EEENS_3hip11IndexGlobalILNS_9named_dimE0ELi256ELi0EEENS8_40AvoidDeviceMaxThreadOccupancyConcretizerINS8_34FractionOffsetOccupancyConcretizerINS_8FractionImLm1ELm1EEELln1EEEEELb1EEENS_9Iterators16numeric_iteratorIllPlEEZN8rajaperf9algorithm10REDUCE_SUM17runHipVariantRAJAILm256ENSN_13gpu_algorithm19block_atomic_helperENSN_11gpu_mapping40global_loop_occupancy_grid_stride_helperEEEvNSN_9VariantIDEEUllE_lNS_4expt15ForallParamPackIJEEES7_SB_TnNSt9enable_ifIXaaaasr3std10is_base_ofINS5_15StridedLoopBaseET4_EE5valuesr3std10is_base_ofINS5_15UnsizedLoopBaseES12_EE5valuegtsrT5_10block_sizeLi0EEmE4typeELm256EEEvT1_T0_T2_T3_
	.globl	_ZN4RAJA6policy3hip4impl18forallp_hip_kernelINS1_8hip_execINS_17iteration_mapping11StridedLoopILm0EEENS_3hip11IndexGlobalILNS_9named_dimE0ELi256ELi0EEENS8_40AvoidDeviceMaxThreadOccupancyConcretizerINS8_34FractionOffsetOccupancyConcretizerINS_8FractionImLm1ELm1EEELln1EEEEELb1EEENS_9Iterators16numeric_iteratorIllPlEEZN8rajaperf9algorithm10REDUCE_SUM17runHipVariantRAJAILm256ENSN_13gpu_algorithm19block_atomic_helperENSN_11gpu_mapping40global_loop_occupancy_grid_stride_helperEEEvNSN_9VariantIDEEUllE_lNS_4expt15ForallParamPackIJEEES7_SB_TnNSt9enable_ifIXaaaasr3std10is_base_ofINS5_15StridedLoopBaseET4_EE5valuesr3std10is_base_ofINS5_15UnsizedLoopBaseES12_EE5valuegtsrT5_10block_sizeLi0EEmE4typeELm256EEEvT1_T0_T2_T3_
	.p2align	8
	.type	_ZN4RAJA6policy3hip4impl18forallp_hip_kernelINS1_8hip_execINS_17iteration_mapping11StridedLoopILm0EEENS_3hip11IndexGlobalILNS_9named_dimE0ELi256ELi0EEENS8_40AvoidDeviceMaxThreadOccupancyConcretizerINS8_34FractionOffsetOccupancyConcretizerINS_8FractionImLm1ELm1EEELln1EEEEELb1EEENS_9Iterators16numeric_iteratorIllPlEEZN8rajaperf9algorithm10REDUCE_SUM17runHipVariantRAJAILm256ENSN_13gpu_algorithm19block_atomic_helperENSN_11gpu_mapping40global_loop_occupancy_grid_stride_helperEEEvNSN_9VariantIDEEUllE_lNS_4expt15ForallParamPackIJEEES7_SB_TnNSt9enable_ifIXaaaasr3std10is_base_ofINS5_15StridedLoopBaseET4_EE5valuesr3std10is_base_ofINS5_15UnsizedLoopBaseES12_EE5valuegtsrT5_10block_sizeLi0EEmE4typeELm256EEEvT1_T0_T2_T3_,@function
_ZN4RAJA6policy3hip4impl18forallp_hip_kernelINS1_8hip_execINS_17iteration_mapping11StridedLoopILm0EEENS_3hip11IndexGlobalILNS_9named_dimE0ELi256ELi0EEENS8_40AvoidDeviceMaxThreadOccupancyConcretizerINS8_34FractionOffsetOccupancyConcretizerINS_8FractionImLm1ELm1EEELln1EEEEELb1EEENS_9Iterators16numeric_iteratorIllPlEEZN8rajaperf9algorithm10REDUCE_SUM17runHipVariantRAJAILm256ENSN_13gpu_algorithm19block_atomic_helperENSN_11gpu_mapping40global_loop_occupancy_grid_stride_helperEEEvNSN_9VariantIDEEUllE_lNS_4expt15ForallParamPackIJEEES7_SB_TnNSt9enable_ifIXaaaasr3std10is_base_ofINS5_15StridedLoopBaseET4_EE5valuesr3std10is_base_ofINS5_15UnsizedLoopBaseES12_EE5valuegtsrT5_10block_sizeLi0EEmE4typeELm256EEEvT1_T0_T2_T3_: ; @_ZN4RAJA6policy3hip4impl18forallp_hip_kernelINS1_8hip_execINS_17iteration_mapping11StridedLoopILm0EEENS_3hip11IndexGlobalILNS_9named_dimE0ELi256ELi0EEENS8_40AvoidDeviceMaxThreadOccupancyConcretizerINS8_34FractionOffsetOccupancyConcretizerINS_8FractionImLm1ELm1EEELln1EEEEELb1EEENS_9Iterators16numeric_iteratorIllPlEEZN8rajaperf9algorithm10REDUCE_SUM17runHipVariantRAJAILm256ENSN_13gpu_algorithm19block_atomic_helperENSN_11gpu_mapping40global_loop_occupancy_grid_stride_helperEEEvNSN_9VariantIDEEUllE_lNS_4expt15ForallParamPackIJEEES7_SB_TnNSt9enable_ifIXaaaasr3std10is_base_ofINS5_15StridedLoopBaseET4_EE5valuesr3std10is_base_ofINS5_15UnsizedLoopBaseES12_EE5valuegtsrT5_10block_sizeLi0EEmE4typeELm256EEEvT1_T0_T2_T3_
; %bb.0:
	s_clause 0x1
	s_load_b64 s[4:5], s[0:1], 0x38
	s_load_b64 s[10:11], s[0:1], 0x18
	s_mov_b32 s8, s13
	s_mov_b32 s9, 0
	s_delay_alu instid0(SALU_CYCLE_1) | instskip(NEXT) | instid1(SALU_CYCLE_1)
	s_lshl_b64 s[2:3], s[8:9], 8
	v_dual_mov_b32 v4, s3 :: v_dual_and_b32 v7, 0x3ff, v0
	s_mov_b32 s3, exec_lo
	s_delay_alu instid0(VALU_DEP_1) | instskip(SKIP_2) | instid1(VALU_DEP_2)
	v_or_b32_e32 v3, s2, v7
	s_waitcnt lgkmcnt(0)
	v_dual_mov_b32 v1, s10 :: v_dual_mov_b32 v2, s11
	v_cmpx_gt_i64_e64 s[4:5], v[3:4]
	s_cbranch_execz .LBB14_4
; %bb.1:
	s_clause 0x1
	s_load_b128 s[16:19], s[0:1], 0x28
	s_load_b32 s12, s[0:1], 0x48
	s_mov_b32 s13, s9
	s_lshl_b64 s[20:21], s[8:9], 11
	v_lshlrev_b32_e32 v1, 3, v7
	s_waitcnt lgkmcnt(0)
	s_lshl_b64 s[18:19], s[18:19], 3
	s_lshl_b64 s[6:7], s[12:13], 8
	s_add_u32 s2, s20, s18
	s_addc_u32 s18, s21, s19
	s_add_u32 s2, s16, s2
	s_addc_u32 s16, s17, s18
	v_add_co_u32 v5, s2, s2, v1
	v_dual_mov_b32 v1, s10 :: v_dual_mov_b32 v2, s11
	v_add_co_ci_u32_e64 v6, null, s16, 0, s2
	s_lshl_b64 s[12:13], s[12:13], 11
.LBB14_2:                               ; =>This Inner Loop Header: Depth=1
	global_load_b64 v[8:9], v[5:6], off
	v_add_co_u32 v3, vcc_lo, v3, s6
	v_add_co_ci_u32_e32 v4, vcc_lo, s7, v4, vcc_lo
	v_add_co_u32 v5, s2, v5, s12
	s_delay_alu instid0(VALU_DEP_1) | instskip(NEXT) | instid1(VALU_DEP_3)
	v_add_co_ci_u32_e64 v6, s2, s13, v6, s2
	v_cmp_le_i64_e32 vcc_lo, s[4:5], v[3:4]
	s_or_b32 s9, vcc_lo, s9
	s_waitcnt vmcnt(0)
	v_add_f64 v[1:2], v[1:2], v[8:9]
	s_and_not1_b32 exec_lo, exec_lo, s9
	s_cbranch_execnz .LBB14_2
; %bb.3:
	s_or_b32 exec_lo, exec_lo, s9
.LBB14_4:
	s_delay_alu instid0(SALU_CYCLE_1)
	s_or_b32 exec_lo, exec_lo, s3
	s_load_b128 s[4:7], s[0:1], 0x0
	s_waitcnt lgkmcnt(0)
	s_cmp_lg_u64 s[4:5], 0
	s_cbranch_scc1 .LBB14_19
; %bb.5:
	s_load_b64 s[2:3], s[0:1], 0x48
	v_mov_b32_e32 v3, 0
	s_add_u32 s4, s0, 0x48
	s_addc_u32 s5, s1, 0
	global_load_b32 v4, v3, s[0:1] offset:86
	s_waitcnt lgkmcnt(0)
	s_cmp_lt_u32 s8, s2
	s_cselect_b32 s0, 12, 18
	s_delay_alu instid0(SALU_CYCLE_1)
	s_add_u32 s0, s4, s0
	s_addc_u32 s1, s5, 0
	s_mov_b32 s5, 0
	global_load_u16 v3, v3, s[0:1]
	s_waitcnt vmcnt(1)
	v_readfirstlane_b32 s0, v4
	v_bfe_u32 v4, v0, 20, 10
	v_bfe_u32 v0, v0, 10, 10
	s_delay_alu instid0(VALU_DEP_3) | instskip(SKIP_4) | instid1(VALU_DEP_2)
	s_and_b32 s4, s0, 0xffff
	s_lshr_b32 s0, s0, 16
	s_waitcnt vmcnt(0)
	v_readfirstlane_b32 s1, v3
	v_mad_u32_u24 v3, v0, v3, v7
	s_mul_i32 s1, s4, s1
	s_delay_alu instid0(SALU_CYCLE_1) | instskip(SKIP_1) | instid1(SALU_CYCLE_1)
	v_mul_lo_u32 v6, s1, v4
	s_mul_i32 s0, s1, s0
	s_and_b32 s4, s0, 63
	s_ashr_i32 s1, s0, 31
	s_cmp_eq_u64 s[4:5], 0
	s_mov_b32 s4, -1
	s_delay_alu instid0(VALU_DEP_1) | instskip(NEXT) | instid1(VALU_DEP_1)
	v_add_nc_u32_e32 v7, v6, v3
	v_ashrrev_i32_e32 v8, 31, v7
	s_cbranch_scc1 .LBB14_20
; %bb.6:
	v_xor_b32_e32 v0, 1, v7
	s_delay_alu instid0(VALU_DEP_1) | instskip(SKIP_1) | instid1(VALU_DEP_1)
	v_cmp_gt_i32_e32 vcc_lo, s0, v0
	v_and_b32_e32 v4, 31, v0
	v_lshlrev_b32_e32 v4, 2, v4
	ds_bpermute_b32 v5, v4, v2
	ds_bpermute_b32 v4, v4, v1
	s_waitcnt lgkmcnt(1)
	v_and_b32_e32 v9, 0xff, v5
	v_and_b32_e32 v10, 0xff00, v5
	v_and_b32_e32 v11, 0xff0000, v5
	v_and_b32_e32 v5, 0xff000000, v5
	s_waitcnt lgkmcnt(0)
	v_or3_b32 v4, v4, 0, 0
	v_or_b32_e32 v9, v9, v10
	s_delay_alu instid0(VALU_DEP_1) | instskip(SKIP_1) | instid1(VALU_DEP_2)
	v_or3_b32 v5, v9, v11, v5
	v_xor_b32_e32 v11, 2, v7
	v_add_f64 v[4:5], v[1:2], v[4:5]
	s_delay_alu instid0(VALU_DEP_2) | instskip(NEXT) | instid1(VALU_DEP_1)
	v_and_b32_e32 v9, 31, v11
	v_dual_cndmask_b32 v4, v1, v4 :: v_dual_lshlrev_b32 v9, 2, v9
	s_delay_alu instid0(VALU_DEP_3)
	v_cndmask_b32_e32 v5, v2, v5, vcc_lo
	v_cmp_gt_i32_e32 vcc_lo, s0, v11
	ds_bpermute_b32 v0, v9, v5
	ds_bpermute_b32 v9, v9, v4
	s_waitcnt lgkmcnt(1)
	v_and_b32_e32 v10, 0xff, v0
	v_and_b32_e32 v12, 0xff00, v0
	v_and_b32_e32 v13, 0xff0000, v0
	v_and_b32_e32 v0, 0xff000000, v0
	s_waitcnt lgkmcnt(0)
	v_or3_b32 v9, v9, 0, 0
	v_or_b32_e32 v10, v10, v12
	s_delay_alu instid0(VALU_DEP_1) | instskip(SKIP_1) | instid1(VALU_DEP_2)
	v_or3_b32 v10, v10, v13, v0
	v_xor_b32_e32 v0, 4, v7
	v_add_f64 v[9:10], v[4:5], v[9:10]
	s_delay_alu instid0(VALU_DEP_2) | instskip(NEXT) | instid1(VALU_DEP_1)
	v_and_b32_e32 v12, 31, v0
	v_dual_cndmask_b32 v5, v5, v10 :: v_dual_lshlrev_b32 v12, 2, v12
	s_delay_alu instid0(VALU_DEP_3)
	v_cndmask_b32_e32 v4, v4, v9, vcc_lo
	v_cmp_gt_i32_e32 vcc_lo, s0, v0
	;; [unrolled: 20-line block ×4, first 2 shown]
	ds_bpermute_b32 v10, v12, v5
	ds_bpermute_b32 v9, v12, v4
	s_waitcnt lgkmcnt(1)
	v_and_b32_e32 v11, 0xff, v10
	v_and_b32_e32 v12, 0xff00, v10
	;; [unrolled: 1-line block ×4, first 2 shown]
	s_waitcnt lgkmcnt(0)
	v_or3_b32 v9, v9, 0, 0
	v_or_b32_e32 v11, v11, v12
	s_delay_alu instid0(VALU_DEP_1) | instskip(SKIP_1) | instid1(VALU_DEP_2)
	v_or3_b32 v10, v11, v13, v10
	v_and_b32_e32 v11, 31, v7
	v_add_f64 v[9:10], v[4:5], v[9:10]
	s_delay_alu instid0(VALU_DEP_2) | instskip(NEXT) | instid1(VALU_DEP_2)
	v_lshlrev_b32_e32 v11, 2, v11
	v_dual_cndmask_b32 v5, v5, v10 :: v_dual_cndmask_b32 v4, v4, v9
	ds_bpermute_b32 v0, v11, v5
	ds_bpermute_b32 v9, v11, v4
	s_waitcnt lgkmcnt(1)
	v_and_b32_e32 v10, 0xff, v0
	v_and_b32_e32 v11, 0xff00, v0
	;; [unrolled: 1-line block ×4, first 2 shown]
	s_waitcnt lgkmcnt(0)
	v_or3_b32 v9, v9, 0, 0
	v_or_b32_e32 v10, v10, v11
	s_delay_alu instid0(VALU_DEP_1) | instskip(SKIP_1) | instid1(VALU_DEP_2)
	v_or3_b32 v10, v10, v12, v0
	v_xor_b32_e32 v0, 32, v7
	v_add_f64 v[9:10], v[4:5], v[9:10]
	s_delay_alu instid0(VALU_DEP_2) | instskip(NEXT) | instid1(VALU_DEP_2)
	v_cmp_gt_i32_e32 vcc_lo, s0, v0
	v_dual_cndmask_b32 v4, v4, v9 :: v_dual_cndmask_b32 v5, v5, v10
	v_mbcnt_lo_u32_b32 v9, -1, 0
	s_cbranch_execnz .LBB14_8
.LBB14_7:
	s_delay_alu instid0(VALU_DEP_1) | instskip(NEXT) | instid1(VALU_DEP_1)
	v_xor_b32_e32 v0, 1, v9
	v_cmp_gt_i32_e32 vcc_lo, 32, v0
	v_cndmask_b32_e32 v0, v9, v0, vcc_lo
	s_delay_alu instid0(VALU_DEP_1)
	v_lshlrev_b32_e32 v0, 2, v0
	ds_bpermute_b32 v4, v0, v2
	ds_bpermute_b32 v0, v0, v1
	s_waitcnt lgkmcnt(1)
	v_and_b32_e32 v5, 0xff, v4
	v_and_b32_e32 v10, 0xff00, v4
	;; [unrolled: 1-line block ×4, first 2 shown]
	s_waitcnt lgkmcnt(0)
	v_or3_b32 v4, v0, 0, 0
	v_or_b32_e32 v5, v5, v10
	s_delay_alu instid0(VALU_DEP_1) | instskip(NEXT) | instid1(VALU_DEP_1)
	v_or3_b32 v5, v5, v11, v12
	v_add_f64 v[0:1], v[1:2], v[4:5]
	v_xor_b32_e32 v2, 2, v9
	s_delay_alu instid0(VALU_DEP_1) | instskip(SKIP_1) | instid1(VALU_DEP_1)
	v_cmp_gt_i32_e32 vcc_lo, 32, v2
	v_cndmask_b32_e32 v2, v9, v2, vcc_lo
	v_lshlrev_b32_e32 v2, 2, v2
	ds_bpermute_b32 v4, v2, v1
	ds_bpermute_b32 v2, v2, v0
	s_waitcnt lgkmcnt(1)
	v_and_b32_e32 v5, 0xff, v4
	v_and_b32_e32 v10, 0xff00, v4
	v_and_b32_e32 v11, 0xff0000, v4
	v_and_b32_e32 v12, 0xff000000, v4
	s_waitcnt lgkmcnt(0)
	v_or3_b32 v4, v2, 0, 0
	v_xor_b32_e32 v2, 4, v9
	v_or_b32_e32 v5, v5, v10
	s_delay_alu instid0(VALU_DEP_2) | instskip(NEXT) | instid1(VALU_DEP_2)
	v_cmp_gt_i32_e32 vcc_lo, 32, v2
	v_or3_b32 v5, v5, v11, v12
	v_cndmask_b32_e32 v2, v9, v2, vcc_lo
	s_delay_alu instid0(VALU_DEP_2) | instskip(NEXT) | instid1(VALU_DEP_2)
	v_add_f64 v[0:1], v[0:1], v[4:5]
	v_lshlrev_b32_e32 v2, 2, v2
	ds_bpermute_b32 v4, v2, v1
	ds_bpermute_b32 v2, v2, v0
	s_waitcnt lgkmcnt(1)
	v_and_b32_e32 v5, 0xff, v4
	v_and_b32_e32 v10, 0xff00, v4
	v_and_b32_e32 v11, 0xff0000, v4
	v_and_b32_e32 v12, 0xff000000, v4
	s_waitcnt lgkmcnt(0)
	v_or3_b32 v4, v2, 0, 0
	v_xor_b32_e32 v2, 8, v9
	v_or_b32_e32 v5, v5, v10
	s_delay_alu instid0(VALU_DEP_2) | instskip(NEXT) | instid1(VALU_DEP_2)
	v_cmp_gt_i32_e32 vcc_lo, 32, v2
	v_or3_b32 v5, v5, v11, v12
	v_cndmask_b32_e32 v2, v9, v2, vcc_lo
	s_delay_alu instid0(VALU_DEP_2) | instskip(NEXT) | instid1(VALU_DEP_2)
	v_add_f64 v[0:1], v[0:1], v[4:5]
	;; [unrolled: 18-line block ×3, first 2 shown]
	v_lshlrev_b32_e32 v2, 2, v2
	ds_bpermute_b32 v4, v2, v1
	ds_bpermute_b32 v2, v2, v0
	s_waitcnt lgkmcnt(1)
	v_and_b32_e32 v5, 0xff, v4
	v_and_b32_e32 v10, 0xff00, v4
	;; [unrolled: 1-line block ×4, first 2 shown]
	s_waitcnt lgkmcnt(0)
	v_or3_b32 v4, v2, 0, 0
	v_or_b32_e32 v2, 32, v9
	v_or_b32_e32 v5, v5, v10
	s_delay_alu instid0(VALU_DEP_2) | instskip(NEXT) | instid1(VALU_DEP_2)
	v_cmp_gt_i32_e32 vcc_lo, 32, v2
	v_or3_b32 v5, v5, v11, v12
	v_cndmask_b32_e32 v2, v9, v2, vcc_lo
	s_delay_alu instid0(VALU_DEP_2) | instskip(NEXT) | instid1(VALU_DEP_2)
	v_add_f64 v[0:1], v[0:1], v[4:5]
	v_lshlrev_b32_e32 v2, 2, v2
	ds_bpermute_b32 v4, v2, v1
	ds_bpermute_b32 v2, v2, v0
	s_waitcnt lgkmcnt(1)
	v_and_b32_e32 v5, 0xff, v4
	v_and_b32_e32 v10, 0xff00, v4
	;; [unrolled: 1-line block ×4, first 2 shown]
	s_delay_alu instid0(VALU_DEP_3) | instskip(NEXT) | instid1(VALU_DEP_1)
	v_or_b32_e32 v5, v5, v10
	v_or3_b32 v5, v5, v11, v4
	s_waitcnt lgkmcnt(0)
	v_or3_b32 v4, v2, 0, 0
	s_delay_alu instid0(VALU_DEP_1)
	v_add_f64 v[4:5], v[0:1], v[4:5]
.LBB14_8:
	s_cmpk_lt_i32 s0, 0x41
	s_cbranch_scc1 .LBB14_16
; %bb.9:
	v_lshrrev_b32_e32 v0, 26, v8
	s_mov_b32 s4, exec_lo
	s_delay_alu instid0(VALU_DEP_1) | instskip(NEXT) | instid1(VALU_DEP_1)
	v_add_nc_u32_e32 v1, v7, v0
	v_and_b32_e32 v0, 0xffffffc0, v1
	s_delay_alu instid0(VALU_DEP_1) | instskip(NEXT) | instid1(VALU_DEP_1)
	v_sub_nc_u32_e32 v0, v7, v0
	v_cmpx_eq_u32_e32 0, v0
	s_cbranch_execz .LBB14_11
; %bb.10:
	v_ashrrev_i32_e32 v1, 6, v1
	s_delay_alu instid0(VALU_DEP_1)
	v_lshlrev_b32_e32 v1, 3, v1
	ds_store_b64 v1, v[4:5]
.LBB14_11:
	s_or_b32 exec_lo, exec_lo, s4
	v_add_co_u32 v1, vcc_lo, v7, 63
	v_add_co_ci_u32_e32 v2, vcc_lo, 0, v8, vcc_lo
	s_mov_b32 s4, exec_lo
	s_waitcnt lgkmcnt(0)
	s_barrier
	buffer_gl0_inv
	v_cmpx_gt_u64_e32 0x7f, v[1:2]
	s_cbranch_execz .LBB14_15
; %bb.12:
	v_ashrrev_i32_e32 v1, 31, v0
	s_delay_alu instid0(VALU_DEP_1) | instskip(NEXT) | instid1(VALU_DEP_1)
	v_lshlrev_b64 v[1:2], 6, v[0:1]
	v_cmp_gt_i64_e32 vcc_lo, s[0:1], v[1:2]
	v_dual_mov_b32 v1, s10 :: v_dual_mov_b32 v2, s11
	s_and_saveexec_b32 s0, vcc_lo
	s_cbranch_execz .LBB14_14
; %bb.13:
	v_lshlrev_b32_e32 v0, 3, v0
	ds_load_b64 v[1:2], v0
.LBB14_14:
	s_or_b32 exec_lo, exec_lo, s0
	v_xor_b32_e32 v0, 1, v9
	s_delay_alu instid0(VALU_DEP_1) | instskip(SKIP_1) | instid1(VALU_DEP_1)
	v_cmp_gt_i32_e32 vcc_lo, 32, v0
	v_cndmask_b32_e32 v0, v9, v0, vcc_lo
	v_lshlrev_b32_e32 v0, 2, v0
	s_waitcnt lgkmcnt(0)
	ds_bpermute_b32 v4, v0, v2
	ds_bpermute_b32 v0, v0, v1
	s_waitcnt lgkmcnt(1)
	v_and_b32_e32 v5, 0xff, v4
	v_and_b32_e32 v7, 0xff00, v4
	;; [unrolled: 1-line block ×4, first 2 shown]
	s_waitcnt lgkmcnt(0)
	v_or3_b32 v4, v0, 0, 0
	v_or_b32_e32 v5, v5, v7
	s_delay_alu instid0(VALU_DEP_1) | instskip(NEXT) | instid1(VALU_DEP_1)
	v_or3_b32 v5, v5, v8, v10
	v_add_f64 v[0:1], v[1:2], v[4:5]
	v_xor_b32_e32 v2, 2, v9
	s_delay_alu instid0(VALU_DEP_1) | instskip(SKIP_1) | instid1(VALU_DEP_1)
	v_cmp_gt_i32_e32 vcc_lo, 32, v2
	v_cndmask_b32_e32 v2, v9, v2, vcc_lo
	v_lshlrev_b32_e32 v2, 2, v2
	ds_bpermute_b32 v4, v2, v1
	ds_bpermute_b32 v2, v2, v0
	s_waitcnt lgkmcnt(1)
	v_and_b32_e32 v5, 0xff, v4
	v_and_b32_e32 v7, 0xff00, v4
	;; [unrolled: 1-line block ×4, first 2 shown]
	s_waitcnt lgkmcnt(0)
	v_or3_b32 v4, v2, 0, 0
	v_xor_b32_e32 v2, 4, v9
	v_or_b32_e32 v5, v5, v7
	s_delay_alu instid0(VALU_DEP_2) | instskip(NEXT) | instid1(VALU_DEP_2)
	v_cmp_gt_i32_e32 vcc_lo, 32, v2
	v_or3_b32 v5, v5, v8, v10
	v_cndmask_b32_e32 v2, v9, v2, vcc_lo
	s_delay_alu instid0(VALU_DEP_2) | instskip(NEXT) | instid1(VALU_DEP_2)
	v_add_f64 v[0:1], v[0:1], v[4:5]
	v_lshlrev_b32_e32 v2, 2, v2
	ds_bpermute_b32 v4, v2, v1
	ds_bpermute_b32 v2, v2, v0
	s_waitcnt lgkmcnt(1)
	v_and_b32_e32 v5, 0xff, v4
	v_and_b32_e32 v7, 0xff00, v4
	;; [unrolled: 1-line block ×4, first 2 shown]
	s_waitcnt lgkmcnt(0)
	v_or3_b32 v4, v2, 0, 0
	v_xor_b32_e32 v2, 8, v9
	v_or_b32_e32 v5, v5, v7
	s_delay_alu instid0(VALU_DEP_2) | instskip(NEXT) | instid1(VALU_DEP_2)
	v_cmp_gt_i32_e32 vcc_lo, 32, v2
	v_or3_b32 v5, v5, v8, v10
	v_cndmask_b32_e32 v2, v9, v2, vcc_lo
	s_delay_alu instid0(VALU_DEP_2) | instskip(NEXT) | instid1(VALU_DEP_2)
	v_add_f64 v[0:1], v[0:1], v[4:5]
	v_lshlrev_b32_e32 v2, 2, v2
	ds_bpermute_b32 v4, v2, v1
	ds_bpermute_b32 v2, v2, v0
	s_waitcnt lgkmcnt(1)
	v_and_b32_e32 v5, 0xff, v4
	v_and_b32_e32 v7, 0xff00, v4
	;; [unrolled: 1-line block ×4, first 2 shown]
	s_delay_alu instid0(VALU_DEP_3) | instskip(NEXT) | instid1(VALU_DEP_1)
	v_or_b32_e32 v5, v5, v7
	v_or3_b32 v5, v5, v8, v4
	s_waitcnt lgkmcnt(0)
	v_or3_b32 v4, v2, 0, 0
	s_delay_alu instid0(VALU_DEP_1)
	v_add_f64 v[4:5], v[0:1], v[4:5]
.LBB14_15:
	s_or_b32 exec_lo, exec_lo, s4
	s_barrier
	buffer_gl0_inv
.LBB14_16:
	s_delay_alu instid0(VALU_DEP_1) | instskip(SKIP_2) | instid1(VALU_DEP_1)
	v_cmp_neq_f64_e32 vcc_lo, s[10:11], v[4:5]
	v_sub_nc_u32_e32 v0, 0, v6
	s_mov_b32 s1, 0
	v_cmp_eq_u32_e64 s0, v3, v0
	s_delay_alu instid0(VALU_DEP_1) | instskip(NEXT) | instid1(SALU_CYCLE_1)
	s_and_b32 s0, s0, vcc_lo
	s_and_saveexec_b32 s4, s0
	s_cbranch_execz .LBB14_19
; %bb.17:
	s_mul_i32 s0, s3, s15
	s_delay_alu instid0(SALU_CYCLE_1) | instskip(NEXT) | instid1(SALU_CYCLE_1)
	s_add_i32 s0, s0, s14
	s_mul_i32 s0, s0, s2
	s_delay_alu instid0(SALU_CYCLE_1) | instskip(NEXT) | instid1(SALU_CYCLE_1)
	s_add_i32 s0, s0, s8
	s_ashr_i32 s2, s0, 31
	s_delay_alu instid0(SALU_CYCLE_1) | instskip(NEXT) | instid1(SALU_CYCLE_1)
	s_lshr_b32 s2, s2, 27
	s_add_i32 s2, s0, s2
	s_delay_alu instid0(SALU_CYCLE_1) | instskip(NEXT) | instid1(SALU_CYCLE_1)
	s_and_b32 s2, s2, 0x1fffffe0
	s_sub_i32 s0, s0, s2
	s_delay_alu instid0(SALU_CYCLE_1) | instskip(NEXT) | instid1(SALU_CYCLE_1)
	s_lshl_b32 s2, s0, 3
	s_ashr_i32 s3, s2, 31
	s_delay_alu instid0(SALU_CYCLE_1) | instskip(NEXT) | instid1(SALU_CYCLE_1)
	s_lshl_b64 s[2:3], s[2:3], 3
	s_add_u32 s2, s6, s2
	s_addc_u32 s3, s7, s3
	s_delay_alu instid0(SALU_CYCLE_1)
	v_dual_mov_b32 v7, s3 :: v_dual_mov_b32 v6, s2
	flat_load_b64 v[2:3], v[6:7]
.LBB14_18:                              ; =>This Inner Loop Header: Depth=1
	s_waitcnt vmcnt(0) lgkmcnt(0)
	v_add_f64 v[0:1], v[2:3], v[4:5]
	flat_atomic_cmpswap_b64 v[0:1], v[6:7], v[0:3] glc
	s_waitcnt vmcnt(0) lgkmcnt(0)
	v_cmp_eq_u64_e32 vcc_lo, v[0:1], v[2:3]
	v_dual_mov_b32 v3, v1 :: v_dual_mov_b32 v2, v0
	s_or_b32 s1, vcc_lo, s1
	s_delay_alu instid0(SALU_CYCLE_1)
	s_and_not1_b32 exec_lo, exec_lo, s1
	s_cbranch_execnz .LBB14_18
.LBB14_19:
	s_endpgm
.LBB14_20:
                                        ; implicit-def: $vgpr4_vgpr5
	v_mbcnt_lo_u32_b32 v9, -1, 0
	s_and_not1_b32 vcc_lo, exec_lo, s4
	s_cbranch_vccz .LBB14_7
	s_branch .LBB14_8
	.section	.rodata,"a",@progbits
	.p2align	6, 0x0
	.amdhsa_kernel _ZN4RAJA6policy3hip4impl18forallp_hip_kernelINS1_8hip_execINS_17iteration_mapping11StridedLoopILm0EEENS_3hip11IndexGlobalILNS_9named_dimE0ELi256ELi0EEENS8_40AvoidDeviceMaxThreadOccupancyConcretizerINS8_34FractionOffsetOccupancyConcretizerINS_8FractionImLm1ELm1EEELln1EEEEELb1EEENS_9Iterators16numeric_iteratorIllPlEEZN8rajaperf9algorithm10REDUCE_SUM17runHipVariantRAJAILm256ENSN_13gpu_algorithm19block_atomic_helperENSN_11gpu_mapping40global_loop_occupancy_grid_stride_helperEEEvNSN_9VariantIDEEUllE_lNS_4expt15ForallParamPackIJEEES7_SB_TnNSt9enable_ifIXaaaasr3std10is_base_ofINS5_15StridedLoopBaseET4_EE5valuesr3std10is_base_ofINS5_15UnsizedLoopBaseES12_EE5valuegtsrT5_10block_sizeLi0EEmE4typeELm256EEEvT1_T0_T2_T3_
		.amdhsa_group_segment_fixed_size 128
		.amdhsa_private_segment_fixed_size 0
		.amdhsa_kernarg_size 328
		.amdhsa_user_sgpr_count 13
		.amdhsa_user_sgpr_dispatch_ptr 0
		.amdhsa_user_sgpr_queue_ptr 0
		.amdhsa_user_sgpr_kernarg_segment_ptr 1
		.amdhsa_user_sgpr_dispatch_id 0
		.amdhsa_user_sgpr_private_segment_size 0
		.amdhsa_wavefront_size32 1
		.amdhsa_uses_dynamic_stack 0
		.amdhsa_enable_private_segment 0
		.amdhsa_system_sgpr_workgroup_id_x 1
		.amdhsa_system_sgpr_workgroup_id_y 1
		.amdhsa_system_sgpr_workgroup_id_z 1
		.amdhsa_system_sgpr_workgroup_info 0
		.amdhsa_system_vgpr_workitem_id 2
		.amdhsa_next_free_vgpr 14
		.amdhsa_next_free_sgpr 22
		.amdhsa_reserve_vcc 1
		.amdhsa_float_round_mode_32 0
		.amdhsa_float_round_mode_16_64 0
		.amdhsa_float_denorm_mode_32 3
		.amdhsa_float_denorm_mode_16_64 3
		.amdhsa_dx10_clamp 1
		.amdhsa_ieee_mode 1
		.amdhsa_fp16_overflow 0
		.amdhsa_workgroup_processor_mode 1
		.amdhsa_memory_ordered 1
		.amdhsa_forward_progress 0
		.amdhsa_shared_vgpr_count 0
		.amdhsa_exception_fp_ieee_invalid_op 0
		.amdhsa_exception_fp_denorm_src 0
		.amdhsa_exception_fp_ieee_div_zero 0
		.amdhsa_exception_fp_ieee_overflow 0
		.amdhsa_exception_fp_ieee_underflow 0
		.amdhsa_exception_fp_ieee_inexact 0
		.amdhsa_exception_int_div_zero 0
	.end_amdhsa_kernel
	.section	.text._ZN4RAJA6policy3hip4impl18forallp_hip_kernelINS1_8hip_execINS_17iteration_mapping11StridedLoopILm0EEENS_3hip11IndexGlobalILNS_9named_dimE0ELi256ELi0EEENS8_40AvoidDeviceMaxThreadOccupancyConcretizerINS8_34FractionOffsetOccupancyConcretizerINS_8FractionImLm1ELm1EEELln1EEEEELb1EEENS_9Iterators16numeric_iteratorIllPlEEZN8rajaperf9algorithm10REDUCE_SUM17runHipVariantRAJAILm256ENSN_13gpu_algorithm19block_atomic_helperENSN_11gpu_mapping40global_loop_occupancy_grid_stride_helperEEEvNSN_9VariantIDEEUllE_lNS_4expt15ForallParamPackIJEEES7_SB_TnNSt9enable_ifIXaaaasr3std10is_base_ofINS5_15StridedLoopBaseET4_EE5valuesr3std10is_base_ofINS5_15UnsizedLoopBaseES12_EE5valuegtsrT5_10block_sizeLi0EEmE4typeELm256EEEvT1_T0_T2_T3_,"axG",@progbits,_ZN4RAJA6policy3hip4impl18forallp_hip_kernelINS1_8hip_execINS_17iteration_mapping11StridedLoopILm0EEENS_3hip11IndexGlobalILNS_9named_dimE0ELi256ELi0EEENS8_40AvoidDeviceMaxThreadOccupancyConcretizerINS8_34FractionOffsetOccupancyConcretizerINS_8FractionImLm1ELm1EEELln1EEEEELb1EEENS_9Iterators16numeric_iteratorIllPlEEZN8rajaperf9algorithm10REDUCE_SUM17runHipVariantRAJAILm256ENSN_13gpu_algorithm19block_atomic_helperENSN_11gpu_mapping40global_loop_occupancy_grid_stride_helperEEEvNSN_9VariantIDEEUllE_lNS_4expt15ForallParamPackIJEEES7_SB_TnNSt9enable_ifIXaaaasr3std10is_base_ofINS5_15StridedLoopBaseET4_EE5valuesr3std10is_base_ofINS5_15UnsizedLoopBaseES12_EE5valuegtsrT5_10block_sizeLi0EEmE4typeELm256EEEvT1_T0_T2_T3_,comdat
.Lfunc_end14:
	.size	_ZN4RAJA6policy3hip4impl18forallp_hip_kernelINS1_8hip_execINS_17iteration_mapping11StridedLoopILm0EEENS_3hip11IndexGlobalILNS_9named_dimE0ELi256ELi0EEENS8_40AvoidDeviceMaxThreadOccupancyConcretizerINS8_34FractionOffsetOccupancyConcretizerINS_8FractionImLm1ELm1EEELln1EEEEELb1EEENS_9Iterators16numeric_iteratorIllPlEEZN8rajaperf9algorithm10REDUCE_SUM17runHipVariantRAJAILm256ENSN_13gpu_algorithm19block_atomic_helperENSN_11gpu_mapping40global_loop_occupancy_grid_stride_helperEEEvNSN_9VariantIDEEUllE_lNS_4expt15ForallParamPackIJEEES7_SB_TnNSt9enable_ifIXaaaasr3std10is_base_ofINS5_15StridedLoopBaseET4_EE5valuesr3std10is_base_ofINS5_15UnsizedLoopBaseES12_EE5valuegtsrT5_10block_sizeLi0EEmE4typeELm256EEEvT1_T0_T2_T3_, .Lfunc_end14-_ZN4RAJA6policy3hip4impl18forallp_hip_kernelINS1_8hip_execINS_17iteration_mapping11StridedLoopILm0EEENS_3hip11IndexGlobalILNS_9named_dimE0ELi256ELi0EEENS8_40AvoidDeviceMaxThreadOccupancyConcretizerINS8_34FractionOffsetOccupancyConcretizerINS_8FractionImLm1ELm1EEELln1EEEEELb1EEENS_9Iterators16numeric_iteratorIllPlEEZN8rajaperf9algorithm10REDUCE_SUM17runHipVariantRAJAILm256ENSN_13gpu_algorithm19block_atomic_helperENSN_11gpu_mapping40global_loop_occupancy_grid_stride_helperEEEvNSN_9VariantIDEEUllE_lNS_4expt15ForallParamPackIJEEES7_SB_TnNSt9enable_ifIXaaaasr3std10is_base_ofINS5_15StridedLoopBaseET4_EE5valuesr3std10is_base_ofINS5_15UnsizedLoopBaseES12_EE5valuegtsrT5_10block_sizeLi0EEmE4typeELm256EEEvT1_T0_T2_T3_
                                        ; -- End function
	.section	.AMDGPU.csdata,"",@progbits
; Kernel info:
; codeLenInByte = 2676
; NumSgprs: 24
; NumVgprs: 14
; ScratchSize: 0
; MemoryBound: 0
; FloatMode: 240
; IeeeMode: 1
; LDSByteSize: 128 bytes/workgroup (compile time only)
; SGPRBlocks: 2
; VGPRBlocks: 1
; NumSGPRsForWavesPerEU: 24
; NumVGPRsForWavesPerEU: 14
; Occupancy: 16
; WaveLimiterHint : 0
; COMPUTE_PGM_RSRC2:SCRATCH_EN: 0
; COMPUTE_PGM_RSRC2:USER_SGPR: 13
; COMPUTE_PGM_RSRC2:TRAP_HANDLER: 0
; COMPUTE_PGM_RSRC2:TGID_X_EN: 1
; COMPUTE_PGM_RSRC2:TGID_Y_EN: 1
; COMPUTE_PGM_RSRC2:TGID_Z_EN: 1
; COMPUTE_PGM_RSRC2:TIDIG_COMP_CNT: 2
	.section	.text._ZN4RAJA6policy3hip4impl18forallp_hip_kernelINS1_8hip_execINS_17iteration_mapping11StridedLoopILm0EEENS_3hip11IndexGlobalILNS_9named_dimE0ELi256ELi0EEENS8_40AvoidDeviceMaxThreadOccupancyConcretizerINS8_34FractionOffsetOccupancyConcretizerINS_8FractionImLm1ELm1EEELln1EEEEELb1EEENS_9Iterators16numeric_iteratorIllPlEEZN8rajaperf9algorithm10REDUCE_SUM17runHipVariantRAJAILm256ENSN_13gpu_algorithm19block_device_helperENSN_11gpu_mapping40global_loop_occupancy_grid_stride_helperEEEvNSN_9VariantIDEEUllE_lNS_4expt15ForallParamPackIJEEES7_SB_TnNSt9enable_ifIXaaaasr3std10is_base_ofINS5_15StridedLoopBaseET4_EE5valuesr3std10is_base_ofINS5_15UnsizedLoopBaseES12_EE5valuegtsrT5_10block_sizeLi0EEmE4typeELm256EEEvT1_T0_T2_T3_,"axG",@progbits,_ZN4RAJA6policy3hip4impl18forallp_hip_kernelINS1_8hip_execINS_17iteration_mapping11StridedLoopILm0EEENS_3hip11IndexGlobalILNS_9named_dimE0ELi256ELi0EEENS8_40AvoidDeviceMaxThreadOccupancyConcretizerINS8_34FractionOffsetOccupancyConcretizerINS_8FractionImLm1ELm1EEELln1EEEEELb1EEENS_9Iterators16numeric_iteratorIllPlEEZN8rajaperf9algorithm10REDUCE_SUM17runHipVariantRAJAILm256ENSN_13gpu_algorithm19block_device_helperENSN_11gpu_mapping40global_loop_occupancy_grid_stride_helperEEEvNSN_9VariantIDEEUllE_lNS_4expt15ForallParamPackIJEEES7_SB_TnNSt9enable_ifIXaaaasr3std10is_base_ofINS5_15StridedLoopBaseET4_EE5valuesr3std10is_base_ofINS5_15UnsizedLoopBaseES12_EE5valuegtsrT5_10block_sizeLi0EEmE4typeELm256EEEvT1_T0_T2_T3_,comdat
	.protected	_ZN4RAJA6policy3hip4impl18forallp_hip_kernelINS1_8hip_execINS_17iteration_mapping11StridedLoopILm0EEENS_3hip11IndexGlobalILNS_9named_dimE0ELi256ELi0EEENS8_40AvoidDeviceMaxThreadOccupancyConcretizerINS8_34FractionOffsetOccupancyConcretizerINS_8FractionImLm1ELm1EEELln1EEEEELb1EEENS_9Iterators16numeric_iteratorIllPlEEZN8rajaperf9algorithm10REDUCE_SUM17runHipVariantRAJAILm256ENSN_13gpu_algorithm19block_device_helperENSN_11gpu_mapping40global_loop_occupancy_grid_stride_helperEEEvNSN_9VariantIDEEUllE_lNS_4expt15ForallParamPackIJEEES7_SB_TnNSt9enable_ifIXaaaasr3std10is_base_ofINS5_15StridedLoopBaseET4_EE5valuesr3std10is_base_ofINS5_15UnsizedLoopBaseES12_EE5valuegtsrT5_10block_sizeLi0EEmE4typeELm256EEEvT1_T0_T2_T3_ ; -- Begin function _ZN4RAJA6policy3hip4impl18forallp_hip_kernelINS1_8hip_execINS_17iteration_mapping11StridedLoopILm0EEENS_3hip11IndexGlobalILNS_9named_dimE0ELi256ELi0EEENS8_40AvoidDeviceMaxThreadOccupancyConcretizerINS8_34FractionOffsetOccupancyConcretizerINS_8FractionImLm1ELm1EEELln1EEEEELb1EEENS_9Iterators16numeric_iteratorIllPlEEZN8rajaperf9algorithm10REDUCE_SUM17runHipVariantRAJAILm256ENSN_13gpu_algorithm19block_device_helperENSN_11gpu_mapping40global_loop_occupancy_grid_stride_helperEEEvNSN_9VariantIDEEUllE_lNS_4expt15ForallParamPackIJEEES7_SB_TnNSt9enable_ifIXaaaasr3std10is_base_ofINS5_15StridedLoopBaseET4_EE5valuesr3std10is_base_ofINS5_15UnsizedLoopBaseES12_EE5valuegtsrT5_10block_sizeLi0EEmE4typeELm256EEEvT1_T0_T2_T3_
	.globl	_ZN4RAJA6policy3hip4impl18forallp_hip_kernelINS1_8hip_execINS_17iteration_mapping11StridedLoopILm0EEENS_3hip11IndexGlobalILNS_9named_dimE0ELi256ELi0EEENS8_40AvoidDeviceMaxThreadOccupancyConcretizerINS8_34FractionOffsetOccupancyConcretizerINS_8FractionImLm1ELm1EEELln1EEEEELb1EEENS_9Iterators16numeric_iteratorIllPlEEZN8rajaperf9algorithm10REDUCE_SUM17runHipVariantRAJAILm256ENSN_13gpu_algorithm19block_device_helperENSN_11gpu_mapping40global_loop_occupancy_grid_stride_helperEEEvNSN_9VariantIDEEUllE_lNS_4expt15ForallParamPackIJEEES7_SB_TnNSt9enable_ifIXaaaasr3std10is_base_ofINS5_15StridedLoopBaseET4_EE5valuesr3std10is_base_ofINS5_15UnsizedLoopBaseES12_EE5valuegtsrT5_10block_sizeLi0EEmE4typeELm256EEEvT1_T0_T2_T3_
	.p2align	8
	.type	_ZN4RAJA6policy3hip4impl18forallp_hip_kernelINS1_8hip_execINS_17iteration_mapping11StridedLoopILm0EEENS_3hip11IndexGlobalILNS_9named_dimE0ELi256ELi0EEENS8_40AvoidDeviceMaxThreadOccupancyConcretizerINS8_34FractionOffsetOccupancyConcretizerINS_8FractionImLm1ELm1EEELln1EEEEELb1EEENS_9Iterators16numeric_iteratorIllPlEEZN8rajaperf9algorithm10REDUCE_SUM17runHipVariantRAJAILm256ENSN_13gpu_algorithm19block_device_helperENSN_11gpu_mapping40global_loop_occupancy_grid_stride_helperEEEvNSN_9VariantIDEEUllE_lNS_4expt15ForallParamPackIJEEES7_SB_TnNSt9enable_ifIXaaaasr3std10is_base_ofINS5_15StridedLoopBaseET4_EE5valuesr3std10is_base_ofINS5_15UnsizedLoopBaseES12_EE5valuegtsrT5_10block_sizeLi0EEmE4typeELm256EEEvT1_T0_T2_T3_,@function
_ZN4RAJA6policy3hip4impl18forallp_hip_kernelINS1_8hip_execINS_17iteration_mapping11StridedLoopILm0EEENS_3hip11IndexGlobalILNS_9named_dimE0ELi256ELi0EEENS8_40AvoidDeviceMaxThreadOccupancyConcretizerINS8_34FractionOffsetOccupancyConcretizerINS_8FractionImLm1ELm1EEELln1EEEEELb1EEENS_9Iterators16numeric_iteratorIllPlEEZN8rajaperf9algorithm10REDUCE_SUM17runHipVariantRAJAILm256ENSN_13gpu_algorithm19block_device_helperENSN_11gpu_mapping40global_loop_occupancy_grid_stride_helperEEEvNSN_9VariantIDEEUllE_lNS_4expt15ForallParamPackIJEEES7_SB_TnNSt9enable_ifIXaaaasr3std10is_base_ofINS5_15StridedLoopBaseET4_EE5valuesr3std10is_base_ofINS5_15UnsizedLoopBaseES12_EE5valuegtsrT5_10block_sizeLi0EEmE4typeELm256EEEvT1_T0_T2_T3_: ; @_ZN4RAJA6policy3hip4impl18forallp_hip_kernelINS1_8hip_execINS_17iteration_mapping11StridedLoopILm0EEENS_3hip11IndexGlobalILNS_9named_dimE0ELi256ELi0EEENS8_40AvoidDeviceMaxThreadOccupancyConcretizerINS8_34FractionOffsetOccupancyConcretizerINS_8FractionImLm1ELm1EEELln1EEEEELb1EEENS_9Iterators16numeric_iteratorIllPlEEZN8rajaperf9algorithm10REDUCE_SUM17runHipVariantRAJAILm256ENSN_13gpu_algorithm19block_device_helperENSN_11gpu_mapping40global_loop_occupancy_grid_stride_helperEEEvNSN_9VariantIDEEUllE_lNS_4expt15ForallParamPackIJEEES7_SB_TnNSt9enable_ifIXaaaasr3std10is_base_ofINS5_15StridedLoopBaseET4_EE5valuesr3std10is_base_ofINS5_15UnsizedLoopBaseES12_EE5valuegtsrT5_10block_sizeLi0EEmE4typeELm256EEEvT1_T0_T2_T3_
; %bb.0:
	s_mov_b32 s16, s13
	s_clause 0x2
	s_load_b64 s[4:5], s[0:1], 0x48
	s_load_b128 s[8:11], s[0:1], 0x18
	s_load_b64 s[12:13], s[0:1], 0x28
	s_mov_b32 s17, 0
	s_delay_alu instid0(SALU_CYCLE_1) | instskip(NEXT) | instid1(SALU_CYCLE_1)
	s_lshl_b64 s[2:3], s[16:17], 8
	v_dual_mov_b32 v4, s3 :: v_dual_and_b32 v7, 0x3ff, v0
	s_mov_b32 s3, exec_lo
	s_delay_alu instid0(VALU_DEP_1) | instskip(SKIP_2) | instid1(VALU_DEP_2)
	v_or_b32_e32 v3, s2, v7
	s_waitcnt lgkmcnt(0)
	v_dual_mov_b32 v1, s8 :: v_dual_mov_b32 v2, s9
	v_cmpx_gt_i64_e64 s[4:5], v[3:4]
	s_cbranch_execz .LBB15_4
; %bb.1:
	s_clause 0x1
	s_load_b128 s[20:23], s[0:1], 0x38
	s_load_b32 s18, s[0:1], 0x58
	s_mov_b32 s19, s17
	s_lshl_b64 s[24:25], s[16:17], 11
	v_lshlrev_b32_e32 v1, 3, v7
	s_waitcnt lgkmcnt(0)
	s_lshl_b64 s[22:23], s[22:23], 3
	s_lshl_b64 s[6:7], s[18:19], 8
	s_add_u32 s2, s24, s22
	s_addc_u32 s22, s25, s23
	s_add_u32 s2, s20, s2
	s_addc_u32 s20, s21, s22
	v_add_co_u32 v5, s2, s2, v1
	v_dual_mov_b32 v1, s8 :: v_dual_mov_b32 v2, s9
	v_add_co_ci_u32_e64 v6, null, s20, 0, s2
	s_lshl_b64 s[18:19], s[18:19], 11
.LBB15_2:                               ; =>This Inner Loop Header: Depth=1
	global_load_b64 v[8:9], v[5:6], off
	v_add_co_u32 v3, vcc_lo, v3, s6
	v_add_co_ci_u32_e32 v4, vcc_lo, s7, v4, vcc_lo
	v_add_co_u32 v5, s2, v5, s18
	s_delay_alu instid0(VALU_DEP_1) | instskip(NEXT) | instid1(VALU_DEP_3)
	v_add_co_ci_u32_e64 v6, s2, s19, v6, s2
	v_cmp_le_i64_e32 vcc_lo, s[4:5], v[3:4]
	s_or_b32 s17, vcc_lo, s17
	s_waitcnt vmcnt(0)
	v_add_f64 v[1:2], v[1:2], v[8:9]
	s_and_not1_b32 exec_lo, exec_lo, s17
	s_cbranch_execnz .LBB15_2
; %bb.3:
	s_or_b32 exec_lo, exec_lo, s17
.LBB15_4:
	s_delay_alu instid0(SALU_CYCLE_1)
	s_or_b32 exec_lo, exec_lo, s3
	s_load_b128 s[4:7], s[0:1], 0x0
	s_waitcnt lgkmcnt(0)
	s_cmp_lg_u64 s[4:5], 0
	s_cbranch_scc0 .LBB15_6
.LBB15_5:
	s_endpgm
.LBB15_6:
	s_load_b64 s[4:5], s[0:1], 0x58
	v_mov_b32_e32 v3, 0
	s_add_u32 s2, s0, 0x58
	s_addc_u32 s3, s1, 0
	s_mov_b32 s19, 0
	global_load_b32 v4, v3, s[0:1] offset:102
	s_waitcnt lgkmcnt(0)
	s_cmp_lt_u32 s16, s4
	s_cselect_b32 s17, 12, 18
	s_delay_alu instid0(SALU_CYCLE_1)
	s_add_u32 s2, s2, s17
	s_addc_u32 s3, s3, 0
	global_load_u16 v3, v3, s[2:3]
	s_waitcnt vmcnt(1)
	v_readfirstlane_b32 s2, v4
	v_bfe_u32 v4, v0, 20, 10
	v_bfe_u32 v0, v0, 10, 10
	s_delay_alu instid0(VALU_DEP_3) | instskip(SKIP_4) | instid1(VALU_DEP_2)
	s_and_b32 s17, s2, 0xffff
	s_lshr_b32 s2, s2, 16
	s_waitcnt vmcnt(0)
	v_readfirstlane_b32 s3, v3
	v_mul_u32_u24_e32 v0, v0, v3
	s_mul_i32 s3, s17, s3
	s_delay_alu instid0(SALU_CYCLE_1) | instskip(SKIP_1) | instid1(SALU_CYCLE_1)
	v_mul_lo_u32 v4, s3, v4
	s_mul_i32 s2, s3, s2
	s_and_b32 s18, s2, 63
	s_ashr_i32 s3, s2, 31
	s_cmp_lg_u64 s[18:19], 0
	s_cselect_b32 s17, -1, 0
	s_delay_alu instid0(VALU_DEP_1)
	v_add3_u32 v0, v0, v7, v4
	s_cmp_eq_u64 s[18:19], 0
	s_mov_b32 s18, -1
	s_cbranch_scc1 .LBB15_42
; %bb.7:
	s_delay_alu instid0(VALU_DEP_1) | instskip(NEXT) | instid1(VALU_DEP_1)
	v_xor_b32_e32 v5, 1, v0
	v_cmp_gt_i32_e32 vcc_lo, s2, v5
	v_and_b32_e32 v3, 31, v5
	s_delay_alu instid0(VALU_DEP_1)
	v_lshlrev_b32_e32 v3, 2, v3
	ds_bpermute_b32 v4, v3, v2
	ds_bpermute_b32 v3, v3, v1
	s_waitcnt lgkmcnt(1)
	v_and_b32_e32 v6, 0xff, v4
	v_and_b32_e32 v7, 0xff00, v4
	;; [unrolled: 1-line block ×4, first 2 shown]
	s_waitcnt lgkmcnt(0)
	v_or3_b32 v3, v3, 0, 0
	v_or_b32_e32 v6, v6, v7
	v_xor_b32_e32 v7, 2, v0
	s_delay_alu instid0(VALU_DEP_2) | instskip(NEXT) | instid1(VALU_DEP_2)
	v_or3_b32 v4, v6, v8, v4
	v_and_b32_e32 v6, 31, v7
	s_delay_alu instid0(VALU_DEP_2) | instskip(NEXT) | instid1(VALU_DEP_2)
	v_add_f64 v[3:4], v[1:2], v[3:4]
	v_lshlrev_b32_e32 v6, 2, v6
	s_delay_alu instid0(VALU_DEP_2)
	v_dual_cndmask_b32 v4, v2, v4 :: v_dual_cndmask_b32 v3, v1, v3
	v_cmp_gt_i32_e32 vcc_lo, s2, v7
	ds_bpermute_b32 v5, v6, v4
	ds_bpermute_b32 v6, v6, v3
	s_waitcnt lgkmcnt(1)
	v_and_b32_e32 v8, 0xff, v5
	v_and_b32_e32 v9, 0xff00, v5
	v_and_b32_e32 v10, 0xff0000, v5
	v_and_b32_e32 v11, 0xff000000, v5
	s_waitcnt lgkmcnt(0)
	v_or3_b32 v5, v6, 0, 0
	v_or_b32_e32 v8, v8, v9
	s_delay_alu instid0(VALU_DEP_1) | instskip(SKIP_1) | instid1(VALU_DEP_2)
	v_or3_b32 v6, v8, v10, v11
	v_xor_b32_e32 v8, 4, v0
	v_add_f64 v[5:6], v[3:4], v[5:6]
	s_delay_alu instid0(VALU_DEP_2) | instskip(NEXT) | instid1(VALU_DEP_1)
	v_and_b32_e32 v9, 31, v8
	v_dual_cndmask_b32 v4, v4, v6 :: v_dual_lshlrev_b32 v9, 2, v9
	s_delay_alu instid0(VALU_DEP_3)
	v_cndmask_b32_e32 v3, v3, v5, vcc_lo
	v_cmp_gt_i32_e32 vcc_lo, s2, v8
	ds_bpermute_b32 v6, v9, v4
	ds_bpermute_b32 v5, v9, v3
	s_waitcnt lgkmcnt(1)
	v_and_b32_e32 v7, 0xff, v6
	v_and_b32_e32 v9, 0xff00, v6
	v_and_b32_e32 v10, 0xff0000, v6
	v_and_b32_e32 v6, 0xff000000, v6
	s_waitcnt lgkmcnt(0)
	v_or3_b32 v5, v5, 0, 0
	v_or_b32_e32 v7, v7, v9
	s_delay_alu instid0(VALU_DEP_1) | instskip(SKIP_1) | instid1(VALU_DEP_2)
	v_or3_b32 v6, v7, v10, v6
	v_xor_b32_e32 v7, 8, v0
	v_add_f64 v[5:6], v[3:4], v[5:6]
	s_delay_alu instid0(VALU_DEP_2) | instskip(NEXT) | instid1(VALU_DEP_1)
	v_and_b32_e32 v9, 31, v7
	v_dual_cndmask_b32 v4, v4, v6 :: v_dual_lshlrev_b32 v9, 2, v9
	s_delay_alu instid0(VALU_DEP_3)
	v_cndmask_b32_e32 v3, v3, v5, vcc_lo
	;; [unrolled: 20-line block ×3, first 2 shown]
	v_cmp_gt_i32_e32 vcc_lo, s2, v8
	ds_bpermute_b32 v6, v9, v4
	ds_bpermute_b32 v5, v9, v3
	s_waitcnt lgkmcnt(1)
	v_and_b32_e32 v7, 0xff, v6
	v_and_b32_e32 v9, 0xff00, v6
	;; [unrolled: 1-line block ×4, first 2 shown]
	s_waitcnt lgkmcnt(0)
	v_or3_b32 v5, v5, 0, 0
	v_or_b32_e32 v7, v7, v9
	s_delay_alu instid0(VALU_DEP_1) | instskip(SKIP_1) | instid1(VALU_DEP_2)
	v_or3_b32 v6, v7, v10, v6
	v_lshlrev_b32_e32 v7, 2, v0
	v_add_f64 v[5:6], v[3:4], v[5:6]
	s_delay_alu instid0(VALU_DEP_1) | instskip(NEXT) | instid1(VALU_DEP_2)
	v_dual_cndmask_b32 v4, v4, v6 :: v_dual_and_b32 v7, 0x7c, v7
	v_cndmask_b32_e32 v3, v3, v5, vcc_lo
	ds_bpermute_b32 v6, v7, v4
	ds_bpermute_b32 v5, v7, v3
	s_waitcnt lgkmcnt(1)
	v_and_b32_e32 v7, 0xff, v6
	v_and_b32_e32 v8, 0xff00, v6
	;; [unrolled: 1-line block ×4, first 2 shown]
	s_waitcnt lgkmcnt(0)
	v_or3_b32 v5, v5, 0, 0
	v_or_b32_e32 v7, v7, v8
	s_delay_alu instid0(VALU_DEP_1) | instskip(SKIP_1) | instid1(VALU_DEP_2)
	v_or3_b32 v6, v7, v9, v6
	v_xor_b32_e32 v7, 32, v0
	v_add_f64 v[5:6], v[3:4], v[5:6]
	s_delay_alu instid0(VALU_DEP_2) | instskip(NEXT) | instid1(VALU_DEP_2)
	v_cmp_gt_i32_e32 vcc_lo, s2, v7
	v_dual_cndmask_b32 v3, v3, v5 :: v_dual_cndmask_b32 v4, v4, v6
	v_mbcnt_lo_u32_b32 v11, -1, 0
	s_cbranch_execnz .LBB15_9
.LBB15_8:
	s_delay_alu instid0(VALU_DEP_1) | instskip(NEXT) | instid1(VALU_DEP_1)
	v_xor_b32_e32 v3, 1, v11
	v_cmp_gt_i32_e32 vcc_lo, 32, v3
	v_cndmask_b32_e32 v3, v11, v3, vcc_lo
	s_delay_alu instid0(VALU_DEP_1)
	v_lshlrev_b32_e32 v3, 2, v3
	ds_bpermute_b32 v4, v3, v2
	ds_bpermute_b32 v3, v3, v1
	s_waitcnt lgkmcnt(1)
	v_and_b32_e32 v6, 0xff00, v4
	v_and_b32_e32 v5, 0xff, v4
	;; [unrolled: 1-line block ×4, first 2 shown]
	s_waitcnt lgkmcnt(0)
	v_or3_b32 v3, v3, 0, 0
	v_or_b32_e32 v5, v5, v6
	s_delay_alu instid0(VALU_DEP_1) | instskip(SKIP_1) | instid1(VALU_DEP_2)
	v_or3_b32 v4, v5, v7, v4
	v_xor_b32_e32 v5, 2, v11
	v_add_f64 v[3:4], v[1:2], v[3:4]
	s_delay_alu instid0(VALU_DEP_2) | instskip(SKIP_1) | instid1(VALU_DEP_1)
	v_cmp_gt_i32_e32 vcc_lo, 32, v5
	v_cndmask_b32_e32 v5, v11, v5, vcc_lo
	v_lshlrev_b32_e32 v5, 2, v5
	ds_bpermute_b32 v6, v5, v4
	ds_bpermute_b32 v5, v5, v3
	s_waitcnt lgkmcnt(1)
	v_and_b32_e32 v7, 0xff, v6
	v_and_b32_e32 v8, 0xff00, v6
	v_and_b32_e32 v9, 0xff0000, v6
	v_and_b32_e32 v6, 0xff000000, v6
	s_waitcnt lgkmcnt(0)
	v_or3_b32 v5, v5, 0, 0
	v_or_b32_e32 v7, v7, v8
	s_delay_alu instid0(VALU_DEP_1) | instskip(NEXT) | instid1(VALU_DEP_1)
	v_or3_b32 v6, v7, v9, v6
	v_add_f64 v[3:4], v[3:4], v[5:6]
	v_xor_b32_e32 v5, 4, v11
	s_delay_alu instid0(VALU_DEP_1) | instskip(SKIP_1) | instid1(VALU_DEP_1)
	v_cmp_gt_i32_e32 vcc_lo, 32, v5
	v_cndmask_b32_e32 v5, v11, v5, vcc_lo
	v_lshlrev_b32_e32 v5, 2, v5
	ds_bpermute_b32 v6, v5, v4
	ds_bpermute_b32 v5, v5, v3
	s_waitcnt lgkmcnt(1)
	v_and_b32_e32 v7, 0xff, v6
	v_and_b32_e32 v8, 0xff00, v6
	v_and_b32_e32 v9, 0xff0000, v6
	v_and_b32_e32 v6, 0xff000000, v6
	s_waitcnt lgkmcnt(0)
	v_or3_b32 v5, v5, 0, 0
	v_or_b32_e32 v7, v7, v8
	s_delay_alu instid0(VALU_DEP_1) | instskip(NEXT) | instid1(VALU_DEP_1)
	v_or3_b32 v6, v7, v9, v6
	v_add_f64 v[3:4], v[3:4], v[5:6]
	v_xor_b32_e32 v5, 8, v11
	s_delay_alu instid0(VALU_DEP_1) | instskip(SKIP_1) | instid1(VALU_DEP_1)
	;; [unrolled: 18-line block ×3, first 2 shown]
	v_cmp_gt_i32_e32 vcc_lo, 32, v5
	v_cndmask_b32_e32 v5, v11, v5, vcc_lo
	v_lshlrev_b32_e32 v5, 2, v5
	ds_bpermute_b32 v6, v5, v4
	ds_bpermute_b32 v5, v5, v3
	s_waitcnt lgkmcnt(1)
	v_and_b32_e32 v7, 0xff, v6
	v_and_b32_e32 v8, 0xff00, v6
	;; [unrolled: 1-line block ×4, first 2 shown]
	s_waitcnt lgkmcnt(0)
	v_or3_b32 v5, v5, 0, 0
	v_or_b32_e32 v7, v7, v8
	s_delay_alu instid0(VALU_DEP_1) | instskip(NEXT) | instid1(VALU_DEP_1)
	v_or3_b32 v6, v7, v9, v6
	v_add_f64 v[3:4], v[3:4], v[5:6]
	v_or_b32_e32 v5, 32, v11
	s_delay_alu instid0(VALU_DEP_1) | instskip(SKIP_1) | instid1(VALU_DEP_1)
	v_cmp_gt_i32_e32 vcc_lo, 32, v5
	v_cndmask_b32_e32 v5, v11, v5, vcc_lo
	v_lshlrev_b32_e32 v5, 2, v5
	ds_bpermute_b32 v6, v5, v4
	ds_bpermute_b32 v5, v5, v3
	s_waitcnt lgkmcnt(1)
	v_and_b32_e32 v7, 0xff, v6
	v_and_b32_e32 v8, 0xff00, v6
	;; [unrolled: 1-line block ×4, first 2 shown]
	s_waitcnt lgkmcnt(0)
	v_or3_b32 v5, v5, 0, 0
	v_or_b32_e32 v7, v7, v8
	s_delay_alu instid0(VALU_DEP_1) | instskip(NEXT) | instid1(VALU_DEP_1)
	v_or3_b32 v6, v7, v9, v6
	v_add_f64 v[3:4], v[3:4], v[5:6]
.LBB15_9:
	v_ashrrev_i32_e32 v12, 31, v0
	s_load_b32 s0, s[0:1], 0x60
	s_cmp_gt_i32 s2, 64
	s_cselect_b32 s1, -1, 0
	s_delay_alu instid0(VALU_DEP_1) | instskip(SKIP_1) | instid1(VALU_DEP_1)
	v_lshrrev_b32_e32 v5, 26, v12
	s_cmpk_lt_i32 s2, 0x41
	v_add_nc_u32_e32 v6, v0, v5
	s_delay_alu instid0(VALU_DEP_1) | instskip(SKIP_1) | instid1(VALU_DEP_2)
	v_and_b32_e32 v5, 0xffffffc0, v6
	v_ashrrev_i32_e32 v13, 6, v6
	v_sub_nc_u32_e32 v5, v0, v5
	s_delay_alu instid0(VALU_DEP_1)
	v_ashrrev_i32_e32 v6, 31, v5
	s_cbranch_scc1 .LBB15_17
; %bb.10:
	s_mov_b32 s18, exec_lo
	v_cmpx_eq_u32_e32 0, v5
	s_cbranch_execz .LBB15_12
; %bb.11:
	v_lshlrev_b32_e32 v7, 3, v13
	ds_store_b64 v7, v[3:4]
.LBB15_12:
	s_or_b32 exec_lo, exec_lo, s18
	v_add_co_u32 v7, vcc_lo, v0, 63
	v_add_co_ci_u32_e32 v8, vcc_lo, 0, v12, vcc_lo
	s_mov_b32 s18, exec_lo
	s_waitcnt lgkmcnt(0)
	s_barrier
	buffer_gl0_inv
	v_cmpx_gt_u64_e32 0x7f, v[7:8]
	s_cbranch_execz .LBB15_16
; %bb.13:
	v_lshlrev_b64 v[3:4], 6, v[5:6]
	s_delay_alu instid0(VALU_DEP_1)
	v_cmp_gt_i64_e32 vcc_lo, s[2:3], v[3:4]
	v_dual_mov_b32 v3, s8 :: v_dual_mov_b32 v4, s9
	s_and_saveexec_b32 s19, vcc_lo
	s_cbranch_execz .LBB15_15
; %bb.14:
	v_lshlrev_b32_e32 v3, 3, v5
	ds_load_b64 v[3:4], v3
.LBB15_15:
	s_or_b32 exec_lo, exec_lo, s19
	v_xor_b32_e32 v7, 1, v11
	s_delay_alu instid0(VALU_DEP_1) | instskip(SKIP_1) | instid1(VALU_DEP_1)
	v_cmp_gt_i32_e32 vcc_lo, 32, v7
	v_cndmask_b32_e32 v7, v11, v7, vcc_lo
	v_lshlrev_b32_e32 v7, 2, v7
	s_waitcnt lgkmcnt(0)
	ds_bpermute_b32 v8, v7, v4
	ds_bpermute_b32 v7, v7, v3
	s_waitcnt lgkmcnt(1)
	v_and_b32_e32 v10, 0xff00, v8
	v_and_b32_e32 v9, 0xff, v8
	v_and_b32_e32 v14, 0xff0000, v8
	v_and_b32_e32 v8, 0xff000000, v8
	s_waitcnt lgkmcnt(0)
	v_or3_b32 v7, v7, 0, 0
	v_or_b32_e32 v9, v9, v10
	s_delay_alu instid0(VALU_DEP_1) | instskip(NEXT) | instid1(VALU_DEP_1)
	v_or3_b32 v8, v9, v14, v8
	v_add_f64 v[3:4], v[3:4], v[7:8]
	v_xor_b32_e32 v7, 2, v11
	s_delay_alu instid0(VALU_DEP_1) | instskip(SKIP_1) | instid1(VALU_DEP_1)
	v_cmp_gt_i32_e32 vcc_lo, 32, v7
	v_cndmask_b32_e32 v7, v11, v7, vcc_lo
	v_lshlrev_b32_e32 v7, 2, v7
	ds_bpermute_b32 v8, v7, v4
	ds_bpermute_b32 v7, v7, v3
	s_waitcnt lgkmcnt(1)
	v_and_b32_e32 v9, 0xff, v8
	v_and_b32_e32 v10, 0xff00, v8
	v_and_b32_e32 v14, 0xff0000, v8
	v_and_b32_e32 v8, 0xff000000, v8
	s_waitcnt lgkmcnt(0)
	v_or3_b32 v7, v7, 0, 0
	v_or_b32_e32 v9, v9, v10
	s_delay_alu instid0(VALU_DEP_1) | instskip(NEXT) | instid1(VALU_DEP_1)
	v_or3_b32 v8, v9, v14, v8
	v_add_f64 v[3:4], v[3:4], v[7:8]
	v_xor_b32_e32 v7, 4, v11
	s_delay_alu instid0(VALU_DEP_1) | instskip(SKIP_1) | instid1(VALU_DEP_1)
	v_cmp_gt_i32_e32 vcc_lo, 32, v7
	v_cndmask_b32_e32 v7, v11, v7, vcc_lo
	v_lshlrev_b32_e32 v7, 2, v7
	;; [unrolled: 18-line block ×3, first 2 shown]
	ds_bpermute_b32 v8, v7, v4
	ds_bpermute_b32 v7, v7, v3
	s_waitcnt lgkmcnt(1)
	v_and_b32_e32 v9, 0xff, v8
	v_and_b32_e32 v10, 0xff00, v8
	;; [unrolled: 1-line block ×4, first 2 shown]
	s_waitcnt lgkmcnt(0)
	v_or3_b32 v7, v7, 0, 0
	v_or_b32_e32 v9, v9, v10
	s_delay_alu instid0(VALU_DEP_1) | instskip(NEXT) | instid1(VALU_DEP_1)
	v_or3_b32 v8, v9, v14, v8
	v_add_f64 v[3:4], v[3:4], v[7:8]
.LBB15_16:
	s_or_b32 exec_lo, exec_lo, s18
	s_barrier
	buffer_gl0_inv
.LBB15_17:
	s_mul_i32 s14, s4, s14
	s_mul_i32 s4, s5, s4
	s_add_i32 s5, s14, s16
	s_mul_i32 s14, s4, s15
	s_delay_alu instid0(SALU_CYCLE_1)
	s_add_i32 s5, s5, s14
	s_waitcnt lgkmcnt(0)
	s_mul_i32 s14, s0, s4
	s_ashr_i32 s0, s5, 31
	s_ashr_i32 s4, s14, 31
	s_lshr_b32 s0, s0, 27
	s_lshr_b32 s4, s4, 27
	s_add_i32 s16, s5, s0
	s_add_i32 s0, s14, s4
	s_and_b32 s4, s16, 0xffffffe0
	s_and_b32 s15, s0, 0xffffffe0
	s_sub_i32 s4, s5, s4
	s_sub_i32 s5, s14, s15
	s_ashr_i32 s0, s0, 5
	s_cmp_lt_i32 s4, s5
	s_cselect_b32 s5, -1, 0
	s_delay_alu instid0(SALU_CYCLE_1)
	s_cmp_lg_u32 s5, 0
	s_addc_u32 s5, s0, 0
	v_cmp_eq_u32_e64 s0, 0, v0
	s_cmp_gt_u32 s5, 1
	s_cbranch_scc0 .LBB15_38
; %bb.18:
	s_add_i32 s14, s14, 31
	s_delay_alu instid0(SALU_CYCLE_1) | instskip(NEXT) | instid1(SALU_CYCLE_1)
	s_ashr_i32 s15, s14, 31
	s_lshr_b32 s15, s15, 27
	s_delay_alu instid0(SALU_CYCLE_1) | instskip(NEXT) | instid1(SALU_CYCLE_1)
	s_add_i32 s14, s14, s15
	s_ashr_i32 s14, s14, 5
	s_delay_alu instid0(SALU_CYCLE_1)
	s_mul_i32 s14, s14, s4
	s_and_saveexec_b32 s15, s0
	s_cbranch_execz .LBB15_20
; %bb.19:
	s_ashr_i32 s16, s16, 5
	s_lshl_b32 s20, s4, 3
	s_add_i32 s18, s14, s16
	s_delay_alu instid0(SALU_CYCLE_1) | instskip(NEXT) | instid1(SALU_CYCLE_1)
	s_ashr_i32 s19, s18, 31
	s_lshl_b64 s[18:19], s[18:19], 3
	s_delay_alu instid0(SALU_CYCLE_1) | instskip(SKIP_4) | instid1(SALU_CYCLE_1)
	s_add_u32 s18, s12, s18
	s_addc_u32 s19, s13, s19
	s_ashr_i32 s21, s20, 31
	v_dual_mov_b32 v7, s18 :: v_dual_mov_b32 v8, s19
	s_lshl_b64 s[20:21], s[20:21], 2
	s_add_u32 s10, s10, s20
	s_addc_u32 s11, s11, s21
	s_add_i32 s16, s5, -1
	s_delay_alu instid0(SALU_CYCLE_1)
	v_dual_mov_b32 v9, 0 :: v_dual_mov_b32 v10, s16
	flat_store_b64 v[7:8], v[3:4]
	s_waitcnt vmcnt(3) expcnt(0) lgkmcnt(0)
	s_waitcnt_vscnt null, 0x0
	global_atomic_inc_u32 v7, v9, v10, s[10:11] glc
	s_waitcnt vmcnt(0)
	v_cmp_eq_u32_e32 vcc_lo, s16, v7
	v_cndmask_b32_e64 v7, 0, 1, vcc_lo
	ds_store_b8 v9, v7 offset:128
.LBB15_20:
	s_or_b32 exec_lo, exec_lo, s15
	v_mov_b32_e32 v7, 0
	s_waitcnt lgkmcnt(0)
	s_barrier
	buffer_gl0_inv
	s_mov_b32 s10, 0
	ds_load_u8 v7, v7 offset:128
	s_waitcnt lgkmcnt(0)
	v_cmp_eq_u32_e32 vcc_lo, 0, v7
	v_dual_mov_b32 v8, v2 :: v_dual_mov_b32 v7, v1
	s_cbranch_vccnz .LBB15_37
; %bb.21:
	v_dual_mov_b32 v7, s8 :: v_dual_mov_b32 v8, s9
	s_mov_b32 s10, exec_lo
	buffer_gl0_inv
	v_cmpx_gt_u32_e64 s5, v0
	s_cbranch_execz .LBB15_25
; %bb.22:
	v_dual_mov_b32 v7, s8 :: v_dual_mov_b32 v8, s9
	v_mov_b32_e32 v10, 0
	v_mov_b32_e32 v14, v0
	s_mov_b32 s11, 0
.LBB15_23:                              ; =>This Inner Loop Header: Depth=1
	s_delay_alu instid0(VALU_DEP_1) | instskip(SKIP_1) | instid1(VALU_DEP_2)
	v_add_nc_u32_e32 v9, s14, v14
	v_add_nc_u32_e32 v14, s2, v14
	v_lshlrev_b64 v[15:16], 3, v[9:10]
	s_delay_alu instid0(VALU_DEP_1) | instskip(NEXT) | instid1(VALU_DEP_2)
	v_add_co_u32 v15, vcc_lo, s12, v15
	v_add_co_ci_u32_e32 v16, vcc_lo, s13, v16, vcc_lo
	s_delay_alu instid0(VALU_DEP_4)
	v_cmp_le_u32_e32 vcc_lo, s5, v14
	flat_load_b64 v[15:16], v[15:16] glc
	s_or_b32 s11, vcc_lo, s11
	s_waitcnt vmcnt(0) lgkmcnt(0)
	v_add_f64 v[7:8], v[7:8], v[15:16]
	s_and_not1_b32 exec_lo, exec_lo, s11
	s_cbranch_execnz .LBB15_23
; %bb.24:
	s_or_b32 exec_lo, exec_lo, s11
.LBB15_25:
	s_delay_alu instid0(SALU_CYCLE_1) | instskip(NEXT) | instid1(SALU_CYCLE_1)
	s_or_b32 exec_lo, exec_lo, s10
	s_and_not1_b32 vcc_lo, exec_lo, s17
	s_cbranch_vccnz .LBB15_43
; %bb.26:
	v_xor_b32_e32 v14, 1, v0
	s_delay_alu instid0(VALU_DEP_1) | instskip(SKIP_1) | instid1(VALU_DEP_2)
	v_and_b32_e32 v9, 31, v14
	v_cmp_gt_i32_e32 vcc_lo, s2, v14
	v_lshlrev_b32_e32 v9, 2, v9
	ds_bpermute_b32 v10, v9, v8
	ds_bpermute_b32 v9, v9, v7
	s_waitcnt lgkmcnt(1)
	v_and_b32_e32 v15, 0xff, v10
	v_and_b32_e32 v16, 0xff00, v10
	;; [unrolled: 1-line block ×4, first 2 shown]
	s_waitcnt lgkmcnt(0)
	v_or3_b32 v9, v9, 0, 0
	v_or_b32_e32 v15, v15, v16
	v_xor_b32_e32 v16, 2, v0
	s_delay_alu instid0(VALU_DEP_2) | instskip(NEXT) | instid1(VALU_DEP_2)
	v_or3_b32 v10, v15, v17, v10
	v_and_b32_e32 v15, 31, v16
	s_delay_alu instid0(VALU_DEP_2) | instskip(NEXT) | instid1(VALU_DEP_1)
	v_add_f64 v[9:10], v[7:8], v[9:10]
	v_dual_cndmask_b32 v10, v8, v10 :: v_dual_lshlrev_b32 v15, 2, v15
	s_delay_alu instid0(VALU_DEP_2)
	v_cndmask_b32_e32 v9, v7, v9, vcc_lo
	v_cmp_gt_i32_e32 vcc_lo, s2, v16
	ds_bpermute_b32 v14, v15, v10
	ds_bpermute_b32 v15, v15, v9
	s_waitcnt lgkmcnt(1)
	v_and_b32_e32 v17, 0xff, v14
	v_and_b32_e32 v18, 0xff00, v14
	;; [unrolled: 1-line block ×4, first 2 shown]
	s_waitcnt lgkmcnt(0)
	v_or3_b32 v14, v15, 0, 0
	v_or_b32_e32 v17, v17, v18
	s_delay_alu instid0(VALU_DEP_1) | instskip(SKIP_1) | instid1(VALU_DEP_2)
	v_or3_b32 v15, v17, v19, v20
	v_xor_b32_e32 v17, 4, v0
	v_add_f64 v[14:15], v[9:10], v[14:15]
	s_delay_alu instid0(VALU_DEP_1) | instskip(NEXT) | instid1(VALU_DEP_1)
	v_dual_cndmask_b32 v9, v9, v14 :: v_dual_and_b32 v18, 31, v17
	v_lshlrev_b32_e32 v18, 2, v18
	s_delay_alu instid0(VALU_DEP_3)
	v_cndmask_b32_e32 v10, v10, v15, vcc_lo
	v_cmp_gt_i32_e32 vcc_lo, s2, v17
	ds_bpermute_b32 v14, v18, v9
	ds_bpermute_b32 v15, v18, v10
	s_waitcnt lgkmcnt(1)
	v_or3_b32 v14, v14, 0, 0
	s_waitcnt lgkmcnt(0)
	v_and_b32_e32 v16, 0xff, v15
	v_and_b32_e32 v18, 0xff00, v15
	v_and_b32_e32 v19, 0xff0000, v15
	v_and_b32_e32 v15, 0xff000000, v15
	s_delay_alu instid0(VALU_DEP_3) | instskip(NEXT) | instid1(VALU_DEP_1)
	v_or_b32_e32 v16, v16, v18
	v_or3_b32 v15, v16, v19, v15
	v_xor_b32_e32 v16, 8, v0
	s_delay_alu instid0(VALU_DEP_2) | instskip(NEXT) | instid1(VALU_DEP_2)
	v_add_f64 v[14:15], v[9:10], v[14:15]
	v_and_b32_e32 v18, 31, v16
	s_delay_alu instid0(VALU_DEP_1) | instskip(NEXT) | instid1(VALU_DEP_3)
	v_lshlrev_b32_e32 v18, 2, v18
	v_dual_cndmask_b32 v10, v10, v15 :: v_dual_cndmask_b32 v9, v9, v14
	v_cmp_gt_i32_e32 vcc_lo, s2, v16
	ds_bpermute_b32 v15, v18, v10
	ds_bpermute_b32 v14, v18, v9
	s_waitcnt lgkmcnt(1)
	v_and_b32_e32 v17, 0xff, v15
	v_and_b32_e32 v18, 0xff00, v15
	;; [unrolled: 1-line block ×4, first 2 shown]
	s_waitcnt lgkmcnt(0)
	v_or3_b32 v14, v14, 0, 0
	v_or_b32_e32 v17, v17, v18
	s_delay_alu instid0(VALU_DEP_1) | instskip(SKIP_1) | instid1(VALU_DEP_2)
	v_or3_b32 v15, v17, v19, v15
	v_xor_b32_e32 v17, 16, v0
	v_add_f64 v[14:15], v[9:10], v[14:15]
	s_delay_alu instid0(VALU_DEP_2) | instskip(NEXT) | instid1(VALU_DEP_1)
	v_and_b32_e32 v18, 31, v17
	v_lshlrev_b32_e32 v18, 2, v18
	s_delay_alu instid0(VALU_DEP_3)
	v_dual_cndmask_b32 v10, v10, v15 :: v_dual_cndmask_b32 v9, v9, v14
	v_cmp_gt_i32_e32 vcc_lo, s2, v17
	ds_bpermute_b32 v15, v18, v10
	ds_bpermute_b32 v14, v18, v9
	s_waitcnt lgkmcnt(1)
	v_and_b32_e32 v16, 0xff, v15
	v_and_b32_e32 v18, 0xff00, v15
	;; [unrolled: 1-line block ×4, first 2 shown]
	s_waitcnt lgkmcnt(0)
	v_or3_b32 v14, v14, 0, 0
	v_or_b32_e32 v16, v16, v18
	s_delay_alu instid0(VALU_DEP_1) | instskip(SKIP_1) | instid1(VALU_DEP_2)
	v_or3_b32 v15, v16, v19, v15
	v_lshlrev_b32_e32 v16, 2, v0
	v_add_f64 v[14:15], v[9:10], v[14:15]
	s_delay_alu instid0(VALU_DEP_2) | instskip(NEXT) | instid1(VALU_DEP_2)
	v_and_b32_e32 v16, 0x7c, v16
	v_dual_cndmask_b32 v10, v10, v15 :: v_dual_cndmask_b32 v9, v9, v14
	ds_bpermute_b32 v15, v16, v10
	ds_bpermute_b32 v14, v16, v9
	s_waitcnt lgkmcnt(1)
	v_and_b32_e32 v16, 0xff, v15
	v_and_b32_e32 v17, 0xff00, v15
	;; [unrolled: 1-line block ×4, first 2 shown]
	s_waitcnt lgkmcnt(0)
	v_or3_b32 v14, v14, 0, 0
	v_or_b32_e32 v16, v16, v17
	s_delay_alu instid0(VALU_DEP_1) | instskip(SKIP_1) | instid1(VALU_DEP_2)
	v_or3_b32 v15, v16, v18, v15
	v_xor_b32_e32 v16, 32, v0
	v_add_f64 v[14:15], v[9:10], v[14:15]
	s_delay_alu instid0(VALU_DEP_2) | instskip(NEXT) | instid1(VALU_DEP_2)
	v_cmp_gt_i32_e32 vcc_lo, s2, v16
	v_dual_cndmask_b32 v9, v9, v14 :: v_dual_cndmask_b32 v10, v10, v15
	s_cbranch_execnz .LBB15_28
.LBB15_27:
	v_xor_b32_e32 v9, 1, v11
	s_delay_alu instid0(VALU_DEP_1) | instskip(SKIP_1) | instid1(VALU_DEP_1)
	v_cmp_gt_i32_e32 vcc_lo, 32, v9
	v_cndmask_b32_e32 v9, v11, v9, vcc_lo
	v_lshlrev_b32_e32 v9, 2, v9
	ds_bpermute_b32 v10, v9, v8
	ds_bpermute_b32 v9, v9, v7
	s_waitcnt lgkmcnt(1)
	v_and_b32_e32 v14, 0xff, v10
	v_and_b32_e32 v15, 0xff00, v10
	v_and_b32_e32 v16, 0xff0000, v10
	v_and_b32_e32 v10, 0xff000000, v10
	s_waitcnt lgkmcnt(0)
	v_or3_b32 v9, v9, 0, 0
	v_or_b32_e32 v14, v14, v15
	s_delay_alu instid0(VALU_DEP_1) | instskip(NEXT) | instid1(VALU_DEP_1)
	v_or3_b32 v10, v14, v16, v10
	v_add_f64 v[7:8], v[7:8], v[9:10]
	v_xor_b32_e32 v9, 2, v11
	s_delay_alu instid0(VALU_DEP_1) | instskip(SKIP_1) | instid1(VALU_DEP_1)
	v_cmp_gt_i32_e32 vcc_lo, 32, v9
	v_cndmask_b32_e32 v9, v11, v9, vcc_lo
	v_lshlrev_b32_e32 v9, 2, v9
	ds_bpermute_b32 v10, v9, v8
	ds_bpermute_b32 v9, v9, v7
	s_waitcnt lgkmcnt(1)
	v_and_b32_e32 v14, 0xff, v10
	v_and_b32_e32 v15, 0xff00, v10
	v_and_b32_e32 v16, 0xff0000, v10
	v_and_b32_e32 v10, 0xff000000, v10
	s_waitcnt lgkmcnt(0)
	v_or3_b32 v9, v9, 0, 0
	v_or_b32_e32 v14, v14, v15
	s_delay_alu instid0(VALU_DEP_1) | instskip(NEXT) | instid1(VALU_DEP_1)
	v_or3_b32 v10, v14, v16, v10
	v_add_f64 v[7:8], v[7:8], v[9:10]
	;; [unrolled: 18-line block ×5, first 2 shown]
	v_or_b32_e32 v9, 32, v11
	s_delay_alu instid0(VALU_DEP_1) | instskip(SKIP_1) | instid1(VALU_DEP_1)
	v_cmp_gt_i32_e32 vcc_lo, 32, v9
	v_cndmask_b32_e32 v9, v11, v9, vcc_lo
	v_lshlrev_b32_e32 v9, 2, v9
	ds_bpermute_b32 v10, v9, v8
	ds_bpermute_b32 v9, v9, v7
	s_waitcnt lgkmcnt(1)
	v_and_b32_e32 v14, 0xff, v10
	v_and_b32_e32 v15, 0xff00, v10
	;; [unrolled: 1-line block ×4, first 2 shown]
	s_waitcnt lgkmcnt(0)
	v_or3_b32 v9, v9, 0, 0
	v_or_b32_e32 v14, v14, v15
	s_delay_alu instid0(VALU_DEP_1) | instskip(NEXT) | instid1(VALU_DEP_1)
	v_or3_b32 v10, v14, v16, v10
	v_add_f64 v[9:10], v[7:8], v[9:10]
.LBB15_28:
	s_and_not1_b32 vcc_lo, exec_lo, s1
	s_cbranch_vccnz .LBB15_36
; %bb.29:
	s_mov_b32 s1, exec_lo
	v_cmpx_eq_u32_e32 0, v5
	s_cbranch_execz .LBB15_31
; %bb.30:
	v_lshlrev_b32_e32 v7, 3, v13
	ds_store_b64 v7, v[9:10]
.LBB15_31:
	s_or_b32 exec_lo, exec_lo, s1
	v_add_co_u32 v7, vcc_lo, v0, 63
	v_add_co_ci_u32_e32 v8, vcc_lo, 0, v12, vcc_lo
	s_mov_b32 s1, exec_lo
	s_waitcnt lgkmcnt(0)
	s_barrier
	buffer_gl0_inv
	v_cmpx_gt_u64_e32 0x7f, v[7:8]
	s_cbranch_execz .LBB15_35
; %bb.32:
	v_lshlrev_b64 v[6:7], 6, v[5:6]
	s_delay_alu instid0(VALU_DEP_1)
	v_cmp_gt_i64_e32 vcc_lo, s[2:3], v[6:7]
	v_dual_mov_b32 v6, s8 :: v_dual_mov_b32 v7, s9
	s_and_saveexec_b32 s2, vcc_lo
	s_cbranch_execz .LBB15_34
; %bb.33:
	v_lshlrev_b32_e32 v0, 3, v5
	ds_load_b64 v[6:7], v0
.LBB15_34:
	s_or_b32 exec_lo, exec_lo, s2
	v_xor_b32_e32 v0, 1, v11
	s_delay_alu instid0(VALU_DEP_1) | instskip(SKIP_1) | instid1(VALU_DEP_1)
	v_cmp_gt_i32_e32 vcc_lo, 32, v0
	v_cndmask_b32_e32 v0, v11, v0, vcc_lo
	v_lshlrev_b32_e32 v0, 2, v0
	s_waitcnt lgkmcnt(0)
	ds_bpermute_b32 v5, v0, v7
	ds_bpermute_b32 v0, v0, v6
	s_waitcnt lgkmcnt(1)
	v_and_b32_e32 v9, 0xff00, v5
	v_and_b32_e32 v8, 0xff, v5
	;; [unrolled: 1-line block ×3, first 2 shown]
	s_delay_alu instid0(VALU_DEP_2) | instskip(SKIP_3) | instid1(VALU_DEP_1)
	v_or_b32_e32 v9, v8, v9
	s_waitcnt lgkmcnt(0)
	v_or3_b32 v8, v0, 0, 0
	v_xor_b32_e32 v0, 2, v11
	v_cmp_gt_i32_e32 vcc_lo, 32, v0
	v_dual_cndmask_b32 v0, v11, v0 :: v_dual_and_b32 v5, 0xff000000, v5
	s_delay_alu instid0(VALU_DEP_1) | instskip(NEXT) | instid1(VALU_DEP_2)
	v_or3_b32 v9, v9, v10, v5
	v_lshlrev_b32_e32 v0, 2, v0
	s_delay_alu instid0(VALU_DEP_2)
	v_add_f64 v[5:6], v[6:7], v[8:9]
	ds_bpermute_b32 v7, v0, v6
	ds_bpermute_b32 v0, v0, v5
	s_waitcnt lgkmcnt(1)
	v_and_b32_e32 v8, 0xff, v7
	v_and_b32_e32 v9, 0xff00, v7
	;; [unrolled: 1-line block ×4, first 2 shown]
	s_waitcnt lgkmcnt(0)
	v_or3_b32 v7, v0, 0, 0
	v_xor_b32_e32 v0, 4, v11
	s_delay_alu instid0(VALU_DEP_1) | instskip(SKIP_2) | instid1(VALU_DEP_2)
	v_cmp_gt_i32_e32 vcc_lo, 32, v0
	v_cndmask_b32_e32 v0, v11, v0, vcc_lo
	v_or_b32_e32 v8, v8, v9
	v_lshlrev_b32_e32 v0, 2, v0
	s_delay_alu instid0(VALU_DEP_2) | instskip(NEXT) | instid1(VALU_DEP_1)
	v_or3_b32 v8, v8, v10, v12
	v_add_f64 v[5:6], v[5:6], v[7:8]
	ds_bpermute_b32 v7, v0, v6
	ds_bpermute_b32 v0, v0, v5
	s_waitcnt lgkmcnt(1)
	v_and_b32_e32 v8, 0xff, v7
	v_and_b32_e32 v9, 0xff00, v7
	;; [unrolled: 1-line block ×4, first 2 shown]
	s_waitcnt lgkmcnt(0)
	v_or3_b32 v7, v0, 0, 0
	v_xor_b32_e32 v0, 8, v11
	s_delay_alu instid0(VALU_DEP_1) | instskip(SKIP_2) | instid1(VALU_DEP_2)
	v_cmp_gt_i32_e32 vcc_lo, 32, v0
	v_cndmask_b32_e32 v0, v11, v0, vcc_lo
	v_or_b32_e32 v8, v8, v9
	v_lshlrev_b32_e32 v0, 2, v0
	s_delay_alu instid0(VALU_DEP_2) | instskip(NEXT) | instid1(VALU_DEP_1)
	v_or3_b32 v8, v8, v10, v12
	v_add_f64 v[5:6], v[5:6], v[7:8]
	ds_bpermute_b32 v7, v0, v6
	ds_bpermute_b32 v0, v0, v5
	s_waitcnt lgkmcnt(1)
	v_and_b32_e32 v8, 0xff, v7
	v_and_b32_e32 v9, 0xff00, v7
	;; [unrolled: 1-line block ×4, first 2 shown]
	s_delay_alu instid0(VALU_DEP_3) | instskip(NEXT) | instid1(VALU_DEP_1)
	v_or_b32_e32 v8, v8, v9
	v_or3_b32 v8, v8, v10, v7
	s_waitcnt lgkmcnt(0)
	v_or3_b32 v7, v0, 0, 0
	s_delay_alu instid0(VALU_DEP_1)
	v_add_f64 v[9:10], v[5:6], v[7:8]
.LBB15_35:
	s_or_b32 exec_lo, exec_lo, s1
	s_barrier
	buffer_gl0_inv
.LBB15_36:
	v_mov_b32_e32 v0, 0
	s_delay_alu instid0(VALU_DEP_2) | instskip(NEXT) | instid1(VALU_DEP_3)
	v_cndmask_b32_e64 v8, v2, v10, s0
	v_cndmask_b32_e64 v7, v1, v9, s0
	ds_load_u8 v0, v0 offset:128
	s_waitcnt lgkmcnt(0)
	v_and_b32_e32 v0, 1, v0
	s_delay_alu instid0(VALU_DEP_1)
	v_cmp_eq_u32_e64 s10, 1, v0
.LBB15_37:
	s_delay_alu instid0(VALU_DEP_1)
	s_and_b32 s1, s0, s10
	s_branch .LBB15_40
.LBB15_38:
                                        ; implicit-def: $sgpr1
                                        ; implicit-def: $vgpr7_vgpr8
	s_cbranch_execz .LBB15_40
; %bb.39:
	s_delay_alu instid0(VALU_DEP_1) | instskip(SKIP_3) | instid1(SALU_CYCLE_1)
	v_cndmask_b32_e64 v8, v2, v4, s0
	v_cndmask_b32_e64 v7, v1, v3, s0
	s_and_not1_b32 s1, s1, exec_lo
	s_and_b32 s0, s0, exec_lo
	s_or_b32 s1, s1, s0
.LBB15_40:
	s_delay_alu instid0(SALU_CYCLE_1)
	s_and_saveexec_b32 s0, s1
	s_cbranch_execz .LBB15_5
; %bb.41:
	s_ashr_i32 s5, s4, 31
	s_delay_alu instid0(SALU_CYCLE_1) | instskip(NEXT) | instid1(SALU_CYCLE_1)
	s_lshl_b64 s[0:1], s[4:5], 3
	s_add_u32 s0, s6, s0
	s_addc_u32 s1, s7, s1
	s_delay_alu instid0(SALU_CYCLE_1)
	v_dual_mov_b32 v0, s0 :: v_dual_mov_b32 v1, s1
	flat_store_b64 v[0:1], v[7:8]
	s_endpgm
.LBB15_42:
                                        ; implicit-def: $vgpr3_vgpr4
	v_mbcnt_lo_u32_b32 v11, -1, 0
	s_and_not1_b32 vcc_lo, exec_lo, s18
	s_cbranch_vccz .LBB15_8
	s_branch .LBB15_9
.LBB15_43:
                                        ; implicit-def: $vgpr9_vgpr10
	s_branch .LBB15_27
	.section	.rodata,"a",@progbits
	.p2align	6, 0x0
	.amdhsa_kernel _ZN4RAJA6policy3hip4impl18forallp_hip_kernelINS1_8hip_execINS_17iteration_mapping11StridedLoopILm0EEENS_3hip11IndexGlobalILNS_9named_dimE0ELi256ELi0EEENS8_40AvoidDeviceMaxThreadOccupancyConcretizerINS8_34FractionOffsetOccupancyConcretizerINS_8FractionImLm1ELm1EEELln1EEEEELb1EEENS_9Iterators16numeric_iteratorIllPlEEZN8rajaperf9algorithm10REDUCE_SUM17runHipVariantRAJAILm256ENSN_13gpu_algorithm19block_device_helperENSN_11gpu_mapping40global_loop_occupancy_grid_stride_helperEEEvNSN_9VariantIDEEUllE_lNS_4expt15ForallParamPackIJEEES7_SB_TnNSt9enable_ifIXaaaasr3std10is_base_ofINS5_15StridedLoopBaseET4_EE5valuesr3std10is_base_ofINS5_15UnsizedLoopBaseES12_EE5valuegtsrT5_10block_sizeLi0EEmE4typeELm256EEEvT1_T0_T2_T3_
		.amdhsa_group_segment_fixed_size 129
		.amdhsa_private_segment_fixed_size 0
		.amdhsa_kernarg_size 344
		.amdhsa_user_sgpr_count 13
		.amdhsa_user_sgpr_dispatch_ptr 0
		.amdhsa_user_sgpr_queue_ptr 0
		.amdhsa_user_sgpr_kernarg_segment_ptr 1
		.amdhsa_user_sgpr_dispatch_id 0
		.amdhsa_user_sgpr_private_segment_size 0
		.amdhsa_wavefront_size32 1
		.amdhsa_uses_dynamic_stack 0
		.amdhsa_enable_private_segment 0
		.amdhsa_system_sgpr_workgroup_id_x 1
		.amdhsa_system_sgpr_workgroup_id_y 1
		.amdhsa_system_sgpr_workgroup_id_z 1
		.amdhsa_system_sgpr_workgroup_info 0
		.amdhsa_system_vgpr_workitem_id 2
		.amdhsa_next_free_vgpr 21
		.amdhsa_next_free_sgpr 26
		.amdhsa_reserve_vcc 1
		.amdhsa_float_round_mode_32 0
		.amdhsa_float_round_mode_16_64 0
		.amdhsa_float_denorm_mode_32 3
		.amdhsa_float_denorm_mode_16_64 3
		.amdhsa_dx10_clamp 1
		.amdhsa_ieee_mode 1
		.amdhsa_fp16_overflow 0
		.amdhsa_workgroup_processor_mode 1
		.amdhsa_memory_ordered 1
		.amdhsa_forward_progress 0
		.amdhsa_shared_vgpr_count 0
		.amdhsa_exception_fp_ieee_invalid_op 0
		.amdhsa_exception_fp_denorm_src 0
		.amdhsa_exception_fp_ieee_div_zero 0
		.amdhsa_exception_fp_ieee_overflow 0
		.amdhsa_exception_fp_ieee_underflow 0
		.amdhsa_exception_fp_ieee_inexact 0
		.amdhsa_exception_int_div_zero 0
	.end_amdhsa_kernel
	.section	.text._ZN4RAJA6policy3hip4impl18forallp_hip_kernelINS1_8hip_execINS_17iteration_mapping11StridedLoopILm0EEENS_3hip11IndexGlobalILNS_9named_dimE0ELi256ELi0EEENS8_40AvoidDeviceMaxThreadOccupancyConcretizerINS8_34FractionOffsetOccupancyConcretizerINS_8FractionImLm1ELm1EEELln1EEEEELb1EEENS_9Iterators16numeric_iteratorIllPlEEZN8rajaperf9algorithm10REDUCE_SUM17runHipVariantRAJAILm256ENSN_13gpu_algorithm19block_device_helperENSN_11gpu_mapping40global_loop_occupancy_grid_stride_helperEEEvNSN_9VariantIDEEUllE_lNS_4expt15ForallParamPackIJEEES7_SB_TnNSt9enable_ifIXaaaasr3std10is_base_ofINS5_15StridedLoopBaseET4_EE5valuesr3std10is_base_ofINS5_15UnsizedLoopBaseES12_EE5valuegtsrT5_10block_sizeLi0EEmE4typeELm256EEEvT1_T0_T2_T3_,"axG",@progbits,_ZN4RAJA6policy3hip4impl18forallp_hip_kernelINS1_8hip_execINS_17iteration_mapping11StridedLoopILm0EEENS_3hip11IndexGlobalILNS_9named_dimE0ELi256ELi0EEENS8_40AvoidDeviceMaxThreadOccupancyConcretizerINS8_34FractionOffsetOccupancyConcretizerINS_8FractionImLm1ELm1EEELln1EEEEELb1EEENS_9Iterators16numeric_iteratorIllPlEEZN8rajaperf9algorithm10REDUCE_SUM17runHipVariantRAJAILm256ENSN_13gpu_algorithm19block_device_helperENSN_11gpu_mapping40global_loop_occupancy_grid_stride_helperEEEvNSN_9VariantIDEEUllE_lNS_4expt15ForallParamPackIJEEES7_SB_TnNSt9enable_ifIXaaaasr3std10is_base_ofINS5_15StridedLoopBaseET4_EE5valuesr3std10is_base_ofINS5_15UnsizedLoopBaseES12_EE5valuegtsrT5_10block_sizeLi0EEmE4typeELm256EEEvT1_T0_T2_T3_,comdat
.Lfunc_end15:
	.size	_ZN4RAJA6policy3hip4impl18forallp_hip_kernelINS1_8hip_execINS_17iteration_mapping11StridedLoopILm0EEENS_3hip11IndexGlobalILNS_9named_dimE0ELi256ELi0EEENS8_40AvoidDeviceMaxThreadOccupancyConcretizerINS8_34FractionOffsetOccupancyConcretizerINS_8FractionImLm1ELm1EEELln1EEEEELb1EEENS_9Iterators16numeric_iteratorIllPlEEZN8rajaperf9algorithm10REDUCE_SUM17runHipVariantRAJAILm256ENSN_13gpu_algorithm19block_device_helperENSN_11gpu_mapping40global_loop_occupancy_grid_stride_helperEEEvNSN_9VariantIDEEUllE_lNS_4expt15ForallParamPackIJEEES7_SB_TnNSt9enable_ifIXaaaasr3std10is_base_ofINS5_15StridedLoopBaseET4_EE5valuesr3std10is_base_ofINS5_15UnsizedLoopBaseES12_EE5valuegtsrT5_10block_sizeLi0EEmE4typeELm256EEEvT1_T0_T2_T3_, .Lfunc_end15-_ZN4RAJA6policy3hip4impl18forallp_hip_kernelINS1_8hip_execINS_17iteration_mapping11StridedLoopILm0EEENS_3hip11IndexGlobalILNS_9named_dimE0ELi256ELi0EEENS8_40AvoidDeviceMaxThreadOccupancyConcretizerINS8_34FractionOffsetOccupancyConcretizerINS_8FractionImLm1ELm1EEELln1EEEEELb1EEENS_9Iterators16numeric_iteratorIllPlEEZN8rajaperf9algorithm10REDUCE_SUM17runHipVariantRAJAILm256ENSN_13gpu_algorithm19block_device_helperENSN_11gpu_mapping40global_loop_occupancy_grid_stride_helperEEEvNSN_9VariantIDEEUllE_lNS_4expt15ForallParamPackIJEEES7_SB_TnNSt9enable_ifIXaaaasr3std10is_base_ofINS5_15StridedLoopBaseET4_EE5valuesr3std10is_base_ofINS5_15UnsizedLoopBaseES12_EE5valuegtsrT5_10block_sizeLi0EEmE4typeELm256EEEvT1_T0_T2_T3_
                                        ; -- End function
	.section	.AMDGPU.csdata,"",@progbits
; Kernel info:
; codeLenInByte = 5124
; NumSgprs: 28
; NumVgprs: 21
; ScratchSize: 0
; MemoryBound: 0
; FloatMode: 240
; IeeeMode: 1
; LDSByteSize: 129 bytes/workgroup (compile time only)
; SGPRBlocks: 3
; VGPRBlocks: 2
; NumSGPRsForWavesPerEU: 28
; NumVGPRsForWavesPerEU: 21
; Occupancy: 16
; WaveLimiterHint : 0
; COMPUTE_PGM_RSRC2:SCRATCH_EN: 0
; COMPUTE_PGM_RSRC2:USER_SGPR: 13
; COMPUTE_PGM_RSRC2:TRAP_HANDLER: 0
; COMPUTE_PGM_RSRC2:TGID_X_EN: 1
; COMPUTE_PGM_RSRC2:TGID_Y_EN: 1
; COMPUTE_PGM_RSRC2:TGID_Z_EN: 1
; COMPUTE_PGM_RSRC2:TIDIG_COMP_CNT: 2
	.section	.text._ZN4RAJA6policy3hip4impl18forallp_hip_kernelINS1_8hip_execINS_17iteration_mapping11StridedLoopILm0EEENS_3hip11IndexGlobalILNS_9named_dimE0ELi256ELi0EEENS8_40AvoidDeviceMaxThreadOccupancyConcretizerINS8_34FractionOffsetOccupancyConcretizerINS_8FractionImLm1ELm1EEELln1EEEEELb1EEENS_9Iterators16numeric_iteratorIllPlEEZN8rajaperf9algorithm10REDUCE_SUM26runHipVariantRAJANewReduceILm256ENSN_11gpu_mapping40global_loop_occupancy_grid_stride_helperEEEvNSN_9VariantIDEEUllRNS_4expt5ValOpIdNS_9operators4plusEEEE_lNSU_15ForallParamPackIJNSU_6detail7ReducerINSX_IdddEEdSY_EEEEES7_SB_TnNSt9enable_ifIXaaaasr3std10is_base_ofINS5_15StridedLoopBaseET4_EE5valuesr3std10is_base_ofINS5_15UnsizedLoopBaseES19_EE5valuegtsrT5_10block_sizeLi0EEmE4typeELm256EEEvT1_T0_T2_T3_,"axG",@progbits,_ZN4RAJA6policy3hip4impl18forallp_hip_kernelINS1_8hip_execINS_17iteration_mapping11StridedLoopILm0EEENS_3hip11IndexGlobalILNS_9named_dimE0ELi256ELi0EEENS8_40AvoidDeviceMaxThreadOccupancyConcretizerINS8_34FractionOffsetOccupancyConcretizerINS_8FractionImLm1ELm1EEELln1EEEEELb1EEENS_9Iterators16numeric_iteratorIllPlEEZN8rajaperf9algorithm10REDUCE_SUM26runHipVariantRAJANewReduceILm256ENSN_11gpu_mapping40global_loop_occupancy_grid_stride_helperEEEvNSN_9VariantIDEEUllRNS_4expt5ValOpIdNS_9operators4plusEEEE_lNSU_15ForallParamPackIJNSU_6detail7ReducerINSX_IdddEEdSY_EEEEES7_SB_TnNSt9enable_ifIXaaaasr3std10is_base_ofINS5_15StridedLoopBaseET4_EE5valuesr3std10is_base_ofINS5_15UnsizedLoopBaseES19_EE5valuegtsrT5_10block_sizeLi0EEmE4typeELm256EEEvT1_T0_T2_T3_,comdat
	.protected	_ZN4RAJA6policy3hip4impl18forallp_hip_kernelINS1_8hip_execINS_17iteration_mapping11StridedLoopILm0EEENS_3hip11IndexGlobalILNS_9named_dimE0ELi256ELi0EEENS8_40AvoidDeviceMaxThreadOccupancyConcretizerINS8_34FractionOffsetOccupancyConcretizerINS_8FractionImLm1ELm1EEELln1EEEEELb1EEENS_9Iterators16numeric_iteratorIllPlEEZN8rajaperf9algorithm10REDUCE_SUM26runHipVariantRAJANewReduceILm256ENSN_11gpu_mapping40global_loop_occupancy_grid_stride_helperEEEvNSN_9VariantIDEEUllRNS_4expt5ValOpIdNS_9operators4plusEEEE_lNSU_15ForallParamPackIJNSU_6detail7ReducerINSX_IdddEEdSY_EEEEES7_SB_TnNSt9enable_ifIXaaaasr3std10is_base_ofINS5_15StridedLoopBaseET4_EE5valuesr3std10is_base_ofINS5_15UnsizedLoopBaseES19_EE5valuegtsrT5_10block_sizeLi0EEmE4typeELm256EEEvT1_T0_T2_T3_ ; -- Begin function _ZN4RAJA6policy3hip4impl18forallp_hip_kernelINS1_8hip_execINS_17iteration_mapping11StridedLoopILm0EEENS_3hip11IndexGlobalILNS_9named_dimE0ELi256ELi0EEENS8_40AvoidDeviceMaxThreadOccupancyConcretizerINS8_34FractionOffsetOccupancyConcretizerINS_8FractionImLm1ELm1EEELln1EEEEELb1EEENS_9Iterators16numeric_iteratorIllPlEEZN8rajaperf9algorithm10REDUCE_SUM26runHipVariantRAJANewReduceILm256ENSN_11gpu_mapping40global_loop_occupancy_grid_stride_helperEEEvNSN_9VariantIDEEUllRNS_4expt5ValOpIdNS_9operators4plusEEEE_lNSU_15ForallParamPackIJNSU_6detail7ReducerINSX_IdddEEdSY_EEEEES7_SB_TnNSt9enable_ifIXaaaasr3std10is_base_ofINS5_15StridedLoopBaseET4_EE5valuesr3std10is_base_ofINS5_15UnsizedLoopBaseES19_EE5valuegtsrT5_10block_sizeLi0EEmE4typeELm256EEEvT1_T0_T2_T3_
	.globl	_ZN4RAJA6policy3hip4impl18forallp_hip_kernelINS1_8hip_execINS_17iteration_mapping11StridedLoopILm0EEENS_3hip11IndexGlobalILNS_9named_dimE0ELi256ELi0EEENS8_40AvoidDeviceMaxThreadOccupancyConcretizerINS8_34FractionOffsetOccupancyConcretizerINS_8FractionImLm1ELm1EEELln1EEEEELb1EEENS_9Iterators16numeric_iteratorIllPlEEZN8rajaperf9algorithm10REDUCE_SUM26runHipVariantRAJANewReduceILm256ENSN_11gpu_mapping40global_loop_occupancy_grid_stride_helperEEEvNSN_9VariantIDEEUllRNS_4expt5ValOpIdNS_9operators4plusEEEE_lNSU_15ForallParamPackIJNSU_6detail7ReducerINSX_IdddEEdSY_EEEEES7_SB_TnNSt9enable_ifIXaaaasr3std10is_base_ofINS5_15StridedLoopBaseET4_EE5valuesr3std10is_base_ofINS5_15UnsizedLoopBaseES19_EE5valuegtsrT5_10block_sizeLi0EEmE4typeELm256EEEvT1_T0_T2_T3_
	.p2align	8
	.type	_ZN4RAJA6policy3hip4impl18forallp_hip_kernelINS1_8hip_execINS_17iteration_mapping11StridedLoopILm0EEENS_3hip11IndexGlobalILNS_9named_dimE0ELi256ELi0EEENS8_40AvoidDeviceMaxThreadOccupancyConcretizerINS8_34FractionOffsetOccupancyConcretizerINS_8FractionImLm1ELm1EEELln1EEEEELb1EEENS_9Iterators16numeric_iteratorIllPlEEZN8rajaperf9algorithm10REDUCE_SUM26runHipVariantRAJANewReduceILm256ENSN_11gpu_mapping40global_loop_occupancy_grid_stride_helperEEEvNSN_9VariantIDEEUllRNS_4expt5ValOpIdNS_9operators4plusEEEE_lNSU_15ForallParamPackIJNSU_6detail7ReducerINSX_IdddEEdSY_EEEEES7_SB_TnNSt9enable_ifIXaaaasr3std10is_base_ofINS5_15StridedLoopBaseET4_EE5valuesr3std10is_base_ofINS5_15UnsizedLoopBaseES19_EE5valuegtsrT5_10block_sizeLi0EEmE4typeELm256EEEvT1_T0_T2_T3_,@function
_ZN4RAJA6policy3hip4impl18forallp_hip_kernelINS1_8hip_execINS_17iteration_mapping11StridedLoopILm0EEENS_3hip11IndexGlobalILNS_9named_dimE0ELi256ELi0EEENS8_40AvoidDeviceMaxThreadOccupancyConcretizerINS8_34FractionOffsetOccupancyConcretizerINS_8FractionImLm1ELm1EEELln1EEEEELb1EEENS_9Iterators16numeric_iteratorIllPlEEZN8rajaperf9algorithm10REDUCE_SUM26runHipVariantRAJANewReduceILm256ENSN_11gpu_mapping40global_loop_occupancy_grid_stride_helperEEEvNSN_9VariantIDEEUllRNS_4expt5ValOpIdNS_9operators4plusEEEE_lNSU_15ForallParamPackIJNSU_6detail7ReducerINSX_IdddEEdSY_EEEEES7_SB_TnNSt9enable_ifIXaaaasr3std10is_base_ofINS5_15StridedLoopBaseET4_EE5valuesr3std10is_base_ofINS5_15UnsizedLoopBaseES19_EE5valuegtsrT5_10block_sizeLi0EEmE4typeELm256EEEvT1_T0_T2_T3_: ; @_ZN4RAJA6policy3hip4impl18forallp_hip_kernelINS1_8hip_execINS_17iteration_mapping11StridedLoopILm0EEENS_3hip11IndexGlobalILNS_9named_dimE0ELi256ELi0EEENS8_40AvoidDeviceMaxThreadOccupancyConcretizerINS8_34FractionOffsetOccupancyConcretizerINS_8FractionImLm1ELm1EEELln1EEEEELb1EEENS_9Iterators16numeric_iteratorIllPlEEZN8rajaperf9algorithm10REDUCE_SUM26runHipVariantRAJANewReduceILm256ENSN_11gpu_mapping40global_loop_occupancy_grid_stride_helperEEEvNSN_9VariantIDEEUllRNS_4expt5ValOpIdNS_9operators4plusEEEE_lNSU_15ForallParamPackIJNSU_6detail7ReducerINSX_IdddEEdSY_EEEEES7_SB_TnNSt9enable_ifIXaaaasr3std10is_base_ofINS5_15StridedLoopBaseET4_EE5valuesr3std10is_base_ofINS5_15UnsizedLoopBaseES19_EE5valuegtsrT5_10block_sizeLi0EEmE4typeELm256EEEvT1_T0_T2_T3_
; %bb.0:
	s_mov_b32 s18, s15
	s_clause 0x3
	s_load_b256 s[4:11], s[0:1], 0x0
	s_load_b128 s[12:15], s[0:1], 0x28
	s_load_b64 s[2:3], s[0:1], 0x38
	s_load_b32 s16, s[0:1], 0x40
	v_and_b32_e32 v1, 0x3ff, v0
	s_mov_b32 s19, 0
	s_delay_alu instid0(SALU_CYCLE_1)
	s_lshl_b64 s[20:21], s[18:19], 8
	s_waitcnt lgkmcnt(0)
	v_dual_mov_b32 v5, s21 :: v_dual_mov_b32 v2, s10
	v_or_b32_e32 v4, s20, v1
	v_mov_b32_e32 v3, s11
	s_add_u32 s20, s0, 64
	s_addc_u32 s21, s1, 0
	s_mov_b32 s1, exec_lo
	v_cmpx_gt_i64_e64 s[8:9], v[4:5]
	s_cbranch_execz .LBB16_4
; %bb.1:
	s_mov_b32 s17, s19
	s_lshl_b64 s[22:23], s[18:19], 11
	s_lshl_b64 s[24:25], s[6:7], 3
	;; [unrolled: 1-line block ×3, first 2 shown]
	v_lshlrev_b32_e32 v2, 3, v1
	s_add_u32 s0, s22, s24
	s_addc_u32 s22, s23, s25
	s_add_u32 s0, s4, s0
	s_addc_u32 s4, s5, s22
	v_add_co_u32 v6, s0, s0, v2
	v_dual_mov_b32 v2, s10 :: v_dual_mov_b32 v3, s11
	v_add_co_ci_u32_e64 v7, null, s4, 0, s0
	s_lshl_b64 s[4:5], s[16:17], 11
	s_mov_b32 s10, s19
.LBB16_2:                               ; =>This Inner Loop Header: Depth=1
	global_load_b64 v[8:9], v[6:7], off
	v_add_co_u32 v4, vcc_lo, v4, s6
	v_add_co_ci_u32_e32 v5, vcc_lo, s7, v5, vcc_lo
	v_add_co_u32 v6, s0, v6, s4
	s_delay_alu instid0(VALU_DEP_1) | instskip(NEXT) | instid1(VALU_DEP_3)
	v_add_co_ci_u32_e64 v7, s0, s5, v7, s0
	v_cmp_le_i64_e32 vcc_lo, s[8:9], v[4:5]
	s_or_b32 s10, vcc_lo, s10
	s_waitcnt vmcnt(0)
	v_add_f64 v[2:3], v[2:3], v[8:9]
	s_and_not1_b32 exec_lo, exec_lo, s10
	s_cbranch_execnz .LBB16_2
; %bb.3:
	s_or_b32 exec_lo, exec_lo, s10
.LBB16_4:
	s_delay_alu instid0(SALU_CYCLE_1) | instskip(SKIP_1) | instid1(VALU_DEP_1)
	s_or_b32 exec_lo, exec_lo, s1
	v_mbcnt_lo_u32_b32 v4, -1, 0
	v_xor_b32_e32 v5, 1, v4
	s_delay_alu instid0(VALU_DEP_1) | instskip(SKIP_1) | instid1(VALU_DEP_1)
	v_cmp_gt_i32_e32 vcc_lo, 32, v5
	v_cndmask_b32_e32 v5, v4, v5, vcc_lo
	v_lshlrev_b32_e32 v6, 2, v5
	ds_bpermute_b32 v5, v6, v3
	ds_bpermute_b32 v7, v6, v2
	s_waitcnt lgkmcnt(1)
	v_and_b32_e32 v8, 0xff, v5
	v_and_b32_e32 v9, 0xff00, v5
	v_and_b32_e32 v10, 0xff0000, v5
	v_and_b32_e32 v5, 0xff000000, v5
	s_waitcnt lgkmcnt(0)
	v_or3_b32 v7, v7, 0, 0
	v_or_b32_e32 v8, v8, v9
	s_delay_alu instid0(VALU_DEP_1) | instskip(SKIP_1) | instid1(VALU_DEP_2)
	v_or3_b32 v8, v8, v10, v5
	v_xor_b32_e32 v5, 2, v4
	v_add_f64 v[2:3], v[2:3], v[7:8]
	s_delay_alu instid0(VALU_DEP_2) | instskip(SKIP_1) | instid1(VALU_DEP_1)
	v_cmp_gt_i32_e32 vcc_lo, 32, v5
	v_cndmask_b32_e32 v5, v4, v5, vcc_lo
	v_lshlrev_b32_e32 v7, 2, v5
	ds_bpermute_b32 v5, v7, v3
	ds_bpermute_b32 v8, v7, v2
	s_waitcnt lgkmcnt(1)
	v_and_b32_e32 v9, 0xff, v5
	v_and_b32_e32 v10, 0xff00, v5
	v_and_b32_e32 v11, 0xff0000, v5
	v_and_b32_e32 v5, 0xff000000, v5
	s_waitcnt lgkmcnt(0)
	v_or3_b32 v8, v8, 0, 0
	v_or_b32_e32 v9, v9, v10
	s_delay_alu instid0(VALU_DEP_1) | instskip(SKIP_1) | instid1(VALU_DEP_2)
	v_or3_b32 v9, v9, v11, v5
	v_xor_b32_e32 v5, 4, v4
	v_add_f64 v[2:3], v[2:3], v[8:9]
	s_delay_alu instid0(VALU_DEP_2) | instskip(SKIP_1) | instid1(VALU_DEP_1)
	;; [unrolled: 18-line block ×4, first 2 shown]
	v_cmp_gt_i32_e32 vcc_lo, 32, v5
	v_cndmask_b32_e32 v5, v4, v5, vcc_lo
	v_lshlrev_b32_e32 v11, 2, v5
	ds_bpermute_b32 v5, v11, v3
	ds_bpermute_b32 v10, v11, v2
	s_waitcnt lgkmcnt(1)
	v_and_b32_e32 v12, 0xff, v5
	v_and_b32_e32 v13, 0xff00, v5
	;; [unrolled: 1-line block ×4, first 2 shown]
	s_delay_alu instid0(VALU_DEP_3) | instskip(SKIP_2) | instid1(VALU_DEP_2)
	v_or_b32_e32 v13, v12, v13
	s_waitcnt lgkmcnt(0)
	v_or3_b32 v12, v10, 0, 0
	v_or3_b32 v13, v13, v14, v5
	v_or_b32_e32 v5, 32, v4
	s_delay_alu instid0(VALU_DEP_2) | instskip(NEXT) | instid1(VALU_DEP_2)
	v_add_f64 v[2:3], v[2:3], v[12:13]
	v_cmp_gt_i32_e32 vcc_lo, 32, v5
	v_cndmask_b32_e32 v5, v4, v5, vcc_lo
	s_delay_alu instid0(VALU_DEP_1)
	v_lshlrev_b32_e32 v12, 2, v5
	ds_bpermute_b32 v5, v12, v3
	ds_bpermute_b32 v10, v12, v2
	s_waitcnt lgkmcnt(1)
	v_and_b32_e32 v13, 0xff, v5
	v_and_b32_e32 v14, 0xff00, v5
	;; [unrolled: 1-line block ×4, first 2 shown]
	s_delay_alu instid0(VALU_DEP_3) | instskip(NEXT) | instid1(VALU_DEP_1)
	v_or_b32_e32 v13, v13, v14
	v_or3_b32 v14, v13, v15, v5
	s_waitcnt lgkmcnt(0)
	v_or3_b32 v13, v10, 0, 0
	v_and_b32_e32 v10, 63, v1
	s_delay_alu instid0(VALU_DEP_2) | instskip(NEXT) | instid1(VALU_DEP_2)
	v_add_f64 v[2:3], v[2:3], v[13:14]
	v_cmp_eq_u32_e32 vcc_lo, 0, v10
	s_and_saveexec_b32 s0, vcc_lo
	s_cbranch_execz .LBB16_6
; %bb.5:
	v_lshrrev_b32_e32 v5, 3, v1
	ds_store_b64 v5, v[2:3] offset:256
.LBB16_6:
	s_or_b32 exec_lo, exec_lo, s0
	v_cmp_gt_u32_e64 s0, 64, v1
	s_waitcnt lgkmcnt(0)
	s_barrier
	buffer_gl0_inv
	s_and_saveexec_b32 s4, s0
	s_cbranch_execz .LBB16_10
; %bb.7:
	v_mov_b32_e32 v2, 0
	v_mov_b32_e32 v3, 0
	s_mov_b32 s5, exec_lo
	v_cmpx_gt_u32_e32 4, v10
	s_cbranch_execz .LBB16_9
; %bb.8:
	v_lshlrev_b32_e32 v2, 3, v10
	ds_load_b64 v[2:3], v2 offset:256
.LBB16_9:
	s_or_b32 exec_lo, exec_lo, s5
	s_waitcnt lgkmcnt(0)
	ds_bpermute_b32 v5, v6, v3
	ds_bpermute_b32 v13, v6, v2
	s_waitcnt lgkmcnt(1)
	v_and_b32_e32 v14, 0xff, v5
	v_and_b32_e32 v15, 0xff00, v5
	v_and_b32_e32 v16, 0xff0000, v5
	v_and_b32_e32 v5, 0xff000000, v5
	s_waitcnt lgkmcnt(0)
	v_or3_b32 v13, v13, 0, 0
	v_or_b32_e32 v14, v14, v15
	s_delay_alu instid0(VALU_DEP_1) | instskip(NEXT) | instid1(VALU_DEP_1)
	v_or3_b32 v14, v14, v16, v5
	v_add_f64 v[2:3], v[2:3], v[13:14]
	ds_bpermute_b32 v5, v7, v3
	ds_bpermute_b32 v13, v7, v2
	s_waitcnt lgkmcnt(1)
	v_and_b32_e32 v14, 0xff, v5
	v_and_b32_e32 v15, 0xff00, v5
	v_and_b32_e32 v16, 0xff0000, v5
	v_and_b32_e32 v5, 0xff000000, v5
	s_waitcnt lgkmcnt(0)
	v_or3_b32 v13, v13, 0, 0
	v_or_b32_e32 v14, v14, v15
	s_delay_alu instid0(VALU_DEP_1) | instskip(NEXT) | instid1(VALU_DEP_1)
	v_or3_b32 v14, v14, v16, v5
	v_add_f64 v[2:3], v[2:3], v[13:14]
	ds_bpermute_b32 v5, v8, v3
	ds_bpermute_b32 v13, v8, v2
	s_waitcnt lgkmcnt(1)
	v_and_b32_e32 v14, 0xff, v5
	v_and_b32_e32 v15, 0xff00, v5
	v_and_b32_e32 v16, 0xff0000, v5
	v_and_b32_e32 v5, 0xff000000, v5
	s_waitcnt lgkmcnt(0)
	v_or3_b32 v13, v13, 0, 0
	v_or_b32_e32 v14, v14, v15
	s_delay_alu instid0(VALU_DEP_1) | instskip(NEXT) | instid1(VALU_DEP_1)
	v_or3_b32 v14, v14, v16, v5
	v_add_f64 v[2:3], v[2:3], v[13:14]
	ds_bpermute_b32 v5, v9, v3
	ds_bpermute_b32 v13, v9, v2
	s_waitcnt lgkmcnt(1)
	v_and_b32_e32 v14, 0xff, v5
	v_and_b32_e32 v15, 0xff00, v5
	v_and_b32_e32 v16, 0xff0000, v5
	v_and_b32_e32 v5, 0xff000000, v5
	s_waitcnt lgkmcnt(0)
	v_or3_b32 v13, v13, 0, 0
	v_or_b32_e32 v14, v14, v15
	s_delay_alu instid0(VALU_DEP_1) | instskip(NEXT) | instid1(VALU_DEP_1)
	v_or3_b32 v14, v14, v16, v5
	v_add_f64 v[2:3], v[2:3], v[13:14]
.LBB16_10:
	s_or_b32 exec_lo, exec_lo, s4
	v_cmp_eq_u32_e64 s1, 0, v1
	v_mov_b32_e32 v5, 0
	v_mov_b32_e32 v13, 0
	s_barrier
	buffer_gl0_inv
	s_and_saveexec_b32 s4, s1
	s_cbranch_execz .LBB16_12
; %bb.11:
	s_bfe_i64 s[6:7], s[18:19], 0x200000
	s_add_i32 s5, s16, -1
	s_delay_alu instid0(SALU_CYCLE_1) | instskip(SKIP_1) | instid1(SALU_CYCLE_1)
	v_dual_mov_b32 v13, 0 :: v_dual_mov_b32 v14, s5
	s_lshl_b64 s[6:7], s[6:7], 3
	s_add_u32 s6, s14, s6
	s_addc_u32 s7, s15, s7
	global_store_b64 v13, v[2:3], s[6:7]
	s_waitcnt_vscnt null, 0x0
	buffer_gl1_inv
	buffer_gl0_inv
	global_atomic_inc_u32 v2, v13, v14, s[2:3] glc
	s_waitcnt vmcnt(0)
	v_cmp_eq_u32_e64 s2, s5, v2
	s_delay_alu instid0(VALU_DEP_1)
	v_cndmask_b32_e64 v13, 0, 1, s2
.LBB16_12:
	s_or_b32 exec_lo, exec_lo, s4
	global_load_b32 v2, v5, s[20:21] offset:14
	s_waitcnt vmcnt(0)
	v_readfirstlane_b32 s2, v2
	v_or_b32_dpp v2, v13, v13 row_shl:1 row_mask:0xf bank_mask:0xf bound_ctrl:1
	s_delay_alu instid0(VALU_DEP_2) | instskip(SKIP_2) | instid1(VALU_DEP_1)
	s_lshr_b32 s3, s2, 16
	s_and_b32 s2, s2, 0xffff
	s_cmp_lt_u32 s18, s16
	v_or_b32_dpp v2, v2, v2 row_shl:2 row_mask:0xf bank_mask:0xf bound_ctrl:1
	s_cselect_b32 s4, 12, 18
	s_delay_alu instid0(SALU_CYCLE_1) | instskip(SKIP_1) | instid1(VALU_DEP_1)
	s_add_u32 s4, s20, s4
	s_addc_u32 s5, s21, 0
	v_or_b32_dpp v2, v2, v2 row_shl:4 row_mask:0xf bank_mask:0xf bound_ctrl:1
	global_load_u16 v14, v5, s[4:5]
	v_or_b32_dpp v2, v2, v2 row_shl:8 row_mask:0xf bank_mask:0xf bound_ctrl:1
	s_delay_alu instid0(VALU_DEP_1) | instskip(NEXT) | instid1(VALU_DEP_1)
	v_mov_b32_dpp v2, v2 row_share:0 row_mask:0xf bank_mask:0xf bound_ctrl:1
	v_permlanex16_b32 v3, v2, 0, 0 op_sel:[0,1]
	s_delay_alu instid0(VALU_DEP_1) | instskip(SKIP_2) | instid1(VALU_DEP_1)
	v_or_b32_e32 v5, v3, v2
	s_waitcnt vmcnt(0)
	v_readfirstlane_b32 s4, v14
	s_mul_i32 s4, s2, s4
	s_delay_alu instid0(SALU_CYCLE_1) | instskip(NEXT) | instid1(SALU_CYCLE_1)
	s_bfe_i32 s4, s4, 0x180000
	s_mul_i32 s3, s4, s3
	s_delay_alu instid0(SALU_CYCLE_1) | instskip(NEXT) | instid1(SALU_CYCLE_1)
	s_add_i32 s3, s3, 31
	s_and_not1_b32 s3, s3, 31
	s_delay_alu instid0(SALU_CYCLE_1)
	s_cmp_eq_u32 s3, 32
	s_cbranch_scc1 .LBB16_21
; %bb.13:
	v_bfe_u32 v2, v0, 10, 10
	v_bfe_u32 v0, v0, 20, 10
	s_mov_b32 s3, exec_lo
	s_delay_alu instid0(VALU_DEP_1) | instskip(NEXT) | instid1(VALU_DEP_1)
	v_mad_u32_u24 v0, v0, s2, v2
	v_mad_u64_u32 v[2:3], null, v0, v14, v[1:2]
	s_delay_alu instid0(VALU_DEP_1) | instskip(NEXT) | instid1(VALU_DEP_1)
	v_lshrrev_b32_e32 v0, 5, v2
	v_or_b32_e32 v0, v0, v4
	s_delay_alu instid0(VALU_DEP_1)
	v_cmpx_eq_u32_e32 0, v0
	s_cbranch_execz .LBB16_15
; %bb.14:
	v_mov_b32_e32 v0, 0
	ds_store_b32 v0, v5
.LBB16_15:
	s_or_b32 exec_lo, exec_lo, s3
	v_cmp_eq_u32_e64 s2, 0, v4
	v_cmp_lt_u32_e64 s3, 31, v2
	s_waitcnt lgkmcnt(0)
	s_barrier
	buffer_gl0_inv
	s_and_b32 s2, s2, s3
	s_delay_alu instid0(SALU_CYCLE_1)
	s_and_saveexec_b32 s3, s2
	s_cbranch_execz .LBB16_20
; %bb.16:
	s_mov_b32 s2, exec_lo
	s_mov_b32 s4, 0
.LBB16_17:                              ; =>This Inner Loop Header: Depth=1
	s_ctz_i32_b32 s5, s2
	s_delay_alu instid0(SALU_CYCLE_1) | instskip(SKIP_1) | instid1(SALU_CYCLE_1)
	v_readlane_b32 s6, v5, s5
	s_lshl_b32 s5, 1, s5
	s_and_not1_b32 s2, s2, s5
	s_delay_alu instid0(VALU_DEP_1)
	s_or_b32 s4, s4, s6
	s_cmp_lg_u32 s2, 0
	s_cbranch_scc1 .LBB16_17
; %bb.18:
	v_mbcnt_lo_u32_b32 v0, exec_lo, 0
	s_mov_b32 s5, exec_lo
	s_delay_alu instid0(VALU_DEP_1)
	v_cmpx_eq_u32_e32 0, v0
	s_xor_b32 s5, exec_lo, s5
	s_cbranch_execz .LBB16_20
; %bb.19:
	v_mov_b32_e32 v0, 0
	v_mov_b32_e32 v2, s4
	ds_or_b32 v0, v2
.LBB16_20:
	s_or_b32 exec_lo, exec_lo, s3
	v_mov_b32_e32 v0, 0
	s_waitcnt lgkmcnt(0)
	s_barrier
	buffer_gl0_inv
	ds_load_b32 v5, v0
	s_waitcnt lgkmcnt(0)
	s_barrier
	buffer_gl0_inv
.LBB16_21:
	s_mov_b32 s3, exec_lo
	v_cmpx_ne_u32_e32 0, v5
	s_cbranch_execz .LBB16_34
; %bb.22:
	v_mov_b32_e32 v2, 0
	v_mov_b32_e32 v3, 0
	s_mov_b32 s4, exec_lo
	buffer_gl1_inv
	buffer_gl0_inv
	v_cmpx_gt_i32_e64 s16, v1
	s_cbranch_execz .LBB16_26
; %bb.23:
	v_lshlrev_b32_e32 v0, 3, v1
	v_mov_b32_e32 v2, 0
	v_mov_b32_e32 v3, 0
	s_mov_b32 s5, 0
	s_delay_alu instid0(VALU_DEP_3) | instskip(NEXT) | instid1(VALU_DEP_1)
	v_add_co_u32 v4, s2, s14, v0
	v_add_co_ci_u32_e64 v5, null, s15, 0, s2
	v_mov_b32_e32 v0, v1
.LBB16_24:                              ; =>This Inner Loop Header: Depth=1
	global_load_b64 v[13:14], v[4:5], off
	v_add_nc_u32_e32 v0, 0x100, v0
	v_add_co_u32 v4, s3, 0x800, v4
	s_delay_alu instid0(VALU_DEP_1) | instskip(NEXT) | instid1(VALU_DEP_3)
	v_add_co_ci_u32_e64 v5, s3, 0, v5, s3
	v_cmp_le_i32_e64 s2, s16, v0
	s_delay_alu instid0(VALU_DEP_1)
	s_or_b32 s5, s2, s5
	s_waitcnt vmcnt(0)
	v_add_f64 v[2:3], v[2:3], v[13:14]
	s_and_not1_b32 exec_lo, exec_lo, s5
	s_cbranch_execnz .LBB16_24
; %bb.25:
	s_or_b32 exec_lo, exec_lo, s5
.LBB16_26:
	s_delay_alu instid0(SALU_CYCLE_1)
	s_or_b32 exec_lo, exec_lo, s4
	ds_bpermute_b32 v0, v6, v3
	ds_bpermute_b32 v4, v6, v2
	s_waitcnt lgkmcnt(1)
	v_and_b32_e32 v5, 0xff, v0
	v_and_b32_e32 v13, 0xff00, v0
	v_and_b32_e32 v14, 0xff0000, v0
	v_and_b32_e32 v0, 0xff000000, v0
	s_waitcnt lgkmcnt(0)
	v_or3_b32 v4, v4, 0, 0
	v_or_b32_e32 v5, v5, v13
	s_delay_alu instid0(VALU_DEP_1) | instskip(NEXT) | instid1(VALU_DEP_1)
	v_or3_b32 v5, v5, v14, v0
	v_add_f64 v[2:3], v[2:3], v[4:5]
	ds_bpermute_b32 v0, v7, v3
	ds_bpermute_b32 v4, v7, v2
	s_waitcnt lgkmcnt(1)
	v_and_b32_e32 v5, 0xff, v0
	v_and_b32_e32 v13, 0xff00, v0
	v_and_b32_e32 v14, 0xff0000, v0
	v_and_b32_e32 v0, 0xff000000, v0
	s_waitcnt lgkmcnt(0)
	v_or3_b32 v4, v4, 0, 0
	v_or_b32_e32 v5, v5, v13
	s_delay_alu instid0(VALU_DEP_1) | instskip(NEXT) | instid1(VALU_DEP_1)
	v_or3_b32 v5, v5, v14, v0
	v_add_f64 v[2:3], v[2:3], v[4:5]
	;; [unrolled: 13-line block ×6, first 2 shown]
	s_and_saveexec_b32 s2, vcc_lo
	s_cbranch_execz .LBB16_28
; %bb.27:
	v_lshrrev_b32_e32 v0, 3, v1
	ds_store_b64 v0, v[2:3] offset:256
.LBB16_28:
	s_or_b32 exec_lo, exec_lo, s2
	s_waitcnt lgkmcnt(0)
	s_barrier
	buffer_gl0_inv
	s_and_saveexec_b32 s2, s0
	s_cbranch_execz .LBB16_32
; %bb.29:
	v_mov_b32_e32 v0, 0
	v_mov_b32_e32 v1, 0
	s_mov_b32 s0, exec_lo
	v_cmpx_gt_u32_e32 4, v10
	s_cbranch_execz .LBB16_31
; %bb.30:
	v_lshlrev_b32_e32 v0, 3, v10
	ds_load_b64 v[0:1], v0 offset:256
.LBB16_31:
	s_or_b32 exec_lo, exec_lo, s0
	s_waitcnt lgkmcnt(0)
	ds_bpermute_b32 v2, v6, v1
	ds_bpermute_b32 v3, v6, v0
	s_waitcnt lgkmcnt(1)
	v_and_b32_e32 v4, 0xff, v2
	v_and_b32_e32 v5, 0xff00, v2
	v_and_b32_e32 v6, 0xff0000, v2
	v_and_b32_e32 v10, 0xff000000, v2
	s_waitcnt lgkmcnt(0)
	v_or3_b32 v2, v3, 0, 0
	v_or_b32_e32 v4, v4, v5
	s_delay_alu instid0(VALU_DEP_1) | instskip(NEXT) | instid1(VALU_DEP_1)
	v_or3_b32 v3, v4, v6, v10
	v_add_f64 v[0:1], v[0:1], v[2:3]
	ds_bpermute_b32 v2, v7, v1
	ds_bpermute_b32 v3, v7, v0
	s_waitcnt lgkmcnt(1)
	v_and_b32_e32 v4, 0xff, v2
	v_and_b32_e32 v5, 0xff00, v2
	v_and_b32_e32 v6, 0xff0000, v2
	v_and_b32_e32 v7, 0xff000000, v2
	s_waitcnt lgkmcnt(0)
	v_or3_b32 v2, v3, 0, 0
	v_or_b32_e32 v4, v4, v5
	s_delay_alu instid0(VALU_DEP_1) | instskip(NEXT) | instid1(VALU_DEP_1)
	v_or3_b32 v3, v4, v6, v7
	v_add_f64 v[0:1], v[0:1], v[2:3]
	;; [unrolled: 13-line block ×3, first 2 shown]
	ds_bpermute_b32 v2, v9, v1
	ds_bpermute_b32 v4, v9, v0
	s_waitcnt lgkmcnt(1)
	v_and_b32_e32 v3, 0xff, v2
	v_and_b32_e32 v5, 0xff00, v2
	;; [unrolled: 1-line block ×4, first 2 shown]
	s_delay_alu instid0(VALU_DEP_3) | instskip(NEXT) | instid1(VALU_DEP_1)
	v_or_b32_e32 v3, v3, v5
	v_or3_b32 v3, v3, v6, v2
	s_waitcnt lgkmcnt(0)
	v_or3_b32 v2, v4, 0, 0
	s_delay_alu instid0(VALU_DEP_1)
	v_add_f64 v[2:3], v[0:1], v[2:3]
.LBB16_32:
	s_or_b32 exec_lo, exec_lo, s2
	s_barrier
	buffer_gl0_inv
	s_and_b32 exec_lo, exec_lo, s1
	s_cbranch_execz .LBB16_34
; %bb.33:
	v_mov_b32_e32 v0, 0
	global_store_b64 v0, v[2:3], s[12:13]
.LBB16_34:
	s_nop 0
	s_sendmsg sendmsg(MSG_DEALLOC_VGPRS)
	s_endpgm
	.section	.rodata,"a",@progbits
	.p2align	6, 0x0
	.amdhsa_kernel _ZN4RAJA6policy3hip4impl18forallp_hip_kernelINS1_8hip_execINS_17iteration_mapping11StridedLoopILm0EEENS_3hip11IndexGlobalILNS_9named_dimE0ELi256ELi0EEENS8_40AvoidDeviceMaxThreadOccupancyConcretizerINS8_34FractionOffsetOccupancyConcretizerINS_8FractionImLm1ELm1EEELln1EEEEELb1EEENS_9Iterators16numeric_iteratorIllPlEEZN8rajaperf9algorithm10REDUCE_SUM26runHipVariantRAJANewReduceILm256ENSN_11gpu_mapping40global_loop_occupancy_grid_stride_helperEEEvNSN_9VariantIDEEUllRNS_4expt5ValOpIdNS_9operators4plusEEEE_lNSU_15ForallParamPackIJNSU_6detail7ReducerINSX_IdddEEdSY_EEEEES7_SB_TnNSt9enable_ifIXaaaasr3std10is_base_ofINS5_15StridedLoopBaseET4_EE5valuesr3std10is_base_ofINS5_15UnsizedLoopBaseES19_EE5valuegtsrT5_10block_sizeLi0EEmE4typeELm256EEEvT1_T0_T2_T3_
		.amdhsa_group_segment_fixed_size 384
		.amdhsa_private_segment_fixed_size 0
		.amdhsa_kernarg_size 320
		.amdhsa_user_sgpr_count 15
		.amdhsa_user_sgpr_dispatch_ptr 0
		.amdhsa_user_sgpr_queue_ptr 0
		.amdhsa_user_sgpr_kernarg_segment_ptr 1
		.amdhsa_user_sgpr_dispatch_id 0
		.amdhsa_user_sgpr_private_segment_size 0
		.amdhsa_wavefront_size32 1
		.amdhsa_uses_dynamic_stack 0
		.amdhsa_enable_private_segment 0
		.amdhsa_system_sgpr_workgroup_id_x 1
		.amdhsa_system_sgpr_workgroup_id_y 0
		.amdhsa_system_sgpr_workgroup_id_z 0
		.amdhsa_system_sgpr_workgroup_info 0
		.amdhsa_system_vgpr_workitem_id 2
		.amdhsa_next_free_vgpr 17
		.amdhsa_next_free_sgpr 26
		.amdhsa_reserve_vcc 1
		.amdhsa_float_round_mode_32 0
		.amdhsa_float_round_mode_16_64 0
		.amdhsa_float_denorm_mode_32 3
		.amdhsa_float_denorm_mode_16_64 3
		.amdhsa_dx10_clamp 1
		.amdhsa_ieee_mode 1
		.amdhsa_fp16_overflow 0
		.amdhsa_workgroup_processor_mode 1
		.amdhsa_memory_ordered 1
		.amdhsa_forward_progress 0
		.amdhsa_shared_vgpr_count 0
		.amdhsa_exception_fp_ieee_invalid_op 0
		.amdhsa_exception_fp_denorm_src 0
		.amdhsa_exception_fp_ieee_div_zero 0
		.amdhsa_exception_fp_ieee_overflow 0
		.amdhsa_exception_fp_ieee_underflow 0
		.amdhsa_exception_fp_ieee_inexact 0
		.amdhsa_exception_int_div_zero 0
	.end_amdhsa_kernel
	.section	.text._ZN4RAJA6policy3hip4impl18forallp_hip_kernelINS1_8hip_execINS_17iteration_mapping11StridedLoopILm0EEENS_3hip11IndexGlobalILNS_9named_dimE0ELi256ELi0EEENS8_40AvoidDeviceMaxThreadOccupancyConcretizerINS8_34FractionOffsetOccupancyConcretizerINS_8FractionImLm1ELm1EEELln1EEEEELb1EEENS_9Iterators16numeric_iteratorIllPlEEZN8rajaperf9algorithm10REDUCE_SUM26runHipVariantRAJANewReduceILm256ENSN_11gpu_mapping40global_loop_occupancy_grid_stride_helperEEEvNSN_9VariantIDEEUllRNS_4expt5ValOpIdNS_9operators4plusEEEE_lNSU_15ForallParamPackIJNSU_6detail7ReducerINSX_IdddEEdSY_EEEEES7_SB_TnNSt9enable_ifIXaaaasr3std10is_base_ofINS5_15StridedLoopBaseET4_EE5valuesr3std10is_base_ofINS5_15UnsizedLoopBaseES19_EE5valuegtsrT5_10block_sizeLi0EEmE4typeELm256EEEvT1_T0_T2_T3_,"axG",@progbits,_ZN4RAJA6policy3hip4impl18forallp_hip_kernelINS1_8hip_execINS_17iteration_mapping11StridedLoopILm0EEENS_3hip11IndexGlobalILNS_9named_dimE0ELi256ELi0EEENS8_40AvoidDeviceMaxThreadOccupancyConcretizerINS8_34FractionOffsetOccupancyConcretizerINS_8FractionImLm1ELm1EEELln1EEEEELb1EEENS_9Iterators16numeric_iteratorIllPlEEZN8rajaperf9algorithm10REDUCE_SUM26runHipVariantRAJANewReduceILm256ENSN_11gpu_mapping40global_loop_occupancy_grid_stride_helperEEEvNSN_9VariantIDEEUllRNS_4expt5ValOpIdNS_9operators4plusEEEE_lNSU_15ForallParamPackIJNSU_6detail7ReducerINSX_IdddEEdSY_EEEEES7_SB_TnNSt9enable_ifIXaaaasr3std10is_base_ofINS5_15StridedLoopBaseET4_EE5valuesr3std10is_base_ofINS5_15UnsizedLoopBaseES19_EE5valuegtsrT5_10block_sizeLi0EEmE4typeELm256EEEvT1_T0_T2_T3_,comdat
.Lfunc_end16:
	.size	_ZN4RAJA6policy3hip4impl18forallp_hip_kernelINS1_8hip_execINS_17iteration_mapping11StridedLoopILm0EEENS_3hip11IndexGlobalILNS_9named_dimE0ELi256ELi0EEENS8_40AvoidDeviceMaxThreadOccupancyConcretizerINS8_34FractionOffsetOccupancyConcretizerINS_8FractionImLm1ELm1EEELln1EEEEELb1EEENS_9Iterators16numeric_iteratorIllPlEEZN8rajaperf9algorithm10REDUCE_SUM26runHipVariantRAJANewReduceILm256ENSN_11gpu_mapping40global_loop_occupancy_grid_stride_helperEEEvNSN_9VariantIDEEUllRNS_4expt5ValOpIdNS_9operators4plusEEEE_lNSU_15ForallParamPackIJNSU_6detail7ReducerINSX_IdddEEdSY_EEEEES7_SB_TnNSt9enable_ifIXaaaasr3std10is_base_ofINS5_15StridedLoopBaseET4_EE5valuesr3std10is_base_ofINS5_15UnsizedLoopBaseES19_EE5valuegtsrT5_10block_sizeLi0EEmE4typeELm256EEEvT1_T0_T2_T3_, .Lfunc_end16-_ZN4RAJA6policy3hip4impl18forallp_hip_kernelINS1_8hip_execINS_17iteration_mapping11StridedLoopILm0EEENS_3hip11IndexGlobalILNS_9named_dimE0ELi256ELi0EEENS8_40AvoidDeviceMaxThreadOccupancyConcretizerINS8_34FractionOffsetOccupancyConcretizerINS_8FractionImLm1ELm1EEELln1EEEEELb1EEENS_9Iterators16numeric_iteratorIllPlEEZN8rajaperf9algorithm10REDUCE_SUM26runHipVariantRAJANewReduceILm256ENSN_11gpu_mapping40global_loop_occupancy_grid_stride_helperEEEvNSN_9VariantIDEEUllRNS_4expt5ValOpIdNS_9operators4plusEEEE_lNSU_15ForallParamPackIJNSU_6detail7ReducerINSX_IdddEEdSY_EEEEES7_SB_TnNSt9enable_ifIXaaaasr3std10is_base_ofINS5_15StridedLoopBaseET4_EE5valuesr3std10is_base_ofINS5_15UnsizedLoopBaseES19_EE5valuegtsrT5_10block_sizeLi0EEmE4typeELm256EEEvT1_T0_T2_T3_
                                        ; -- End function
	.section	.AMDGPU.csdata,"",@progbits
; Kernel info:
; codeLenInByte = 3152
; NumSgprs: 28
; NumVgprs: 17
; ScratchSize: 0
; MemoryBound: 0
; FloatMode: 240
; IeeeMode: 1
; LDSByteSize: 384 bytes/workgroup (compile time only)
; SGPRBlocks: 3
; VGPRBlocks: 2
; NumSGPRsForWavesPerEU: 28
; NumVGPRsForWavesPerEU: 17
; Occupancy: 16
; WaveLimiterHint : 0
; COMPUTE_PGM_RSRC2:SCRATCH_EN: 0
; COMPUTE_PGM_RSRC2:USER_SGPR: 15
; COMPUTE_PGM_RSRC2:TRAP_HANDLER: 0
; COMPUTE_PGM_RSRC2:TGID_X_EN: 1
; COMPUTE_PGM_RSRC2:TGID_Y_EN: 0
; COMPUTE_PGM_RSRC2:TGID_Z_EN: 0
; COMPUTE_PGM_RSRC2:TIDIG_COMP_CNT: 2
	.text
	.p2alignl 7, 3214868480
	.fill 96, 4, 3214868480
	.type	__hip_cuid_8bed2ebc3a6281bc,@object ; @__hip_cuid_8bed2ebc3a6281bc
	.section	.bss,"aw",@nobits
	.globl	__hip_cuid_8bed2ebc3a6281bc
__hip_cuid_8bed2ebc3a6281bc:
	.byte	0                               ; 0x0
	.size	__hip_cuid_8bed2ebc3a6281bc, 1

	.ident	"AMD clang version 19.0.0git (https://github.com/RadeonOpenCompute/llvm-project roc-6.4.0 25133 c7fe45cf4b819c5991fe208aaa96edf142730f1d)"
	.section	".note.GNU-stack","",@progbits
	.addrsig
	.addrsig_sym __hip_cuid_8bed2ebc3a6281bc
	.amdgpu_metadata
---
amdhsa.kernels:
  - .args:
      - .address_space:  global
        .offset:         0
        .size:           8
        .value_kind:     global_buffer
      - .offset:         8
        .size:           8
        .value_kind:     by_value
      - .address_space:  global
        .offset:         16
        .size:           8
        .value_kind:     global_buffer
      - .offset:         24
        .size:           8
        .value_kind:     by_value
      - .offset:         32
        .size:           1
        .value_kind:     by_value
    .group_segment_fixed_size: 128
    .kernarg_segment_align: 8
    .kernarg_segment_size: 36
    .language:       OpenCL C
    .language_version:
      - 2
      - 0
    .max_flat_workgroup_size: 256
    .name:           _ZN7rocprim6detail19block_reduce_kernelILb0ELb1ELj1ENS0_21wrapped_reduce_configINS_14default_configEdEEdPdS5_dNS_4plusIdEEEEvT4_mT5_T6_T7_
    .private_segment_fixed_size: 0
    .sgpr_count:     18
    .sgpr_spill_count: 0
    .symbol:         _ZN7rocprim6detail19block_reduce_kernelILb0ELb1ELj1ENS0_21wrapped_reduce_configINS_14default_configEdEEdPdS5_dNS_4plusIdEEEEvT4_mT5_T6_T7_.kd
    .uniform_work_group_size: 1
    .uses_dynamic_stack: false
    .vgpr_count:     13
    .vgpr_spill_count: 0
    .wavefront_size: 32
    .workgroup_processor_mode: 1
  - .args:
      - .address_space:  global
        .offset:         0
        .size:           8
        .value_kind:     global_buffer
      - .offset:         8
        .size:           8
        .value_kind:     by_value
      - .address_space:  global
        .offset:         16
        .size:           8
        .value_kind:     global_buffer
      - .offset:         24
        .size:           8
        .value_kind:     by_value
      - .offset:         32
        .size:           1
        .value_kind:     by_value
    .group_segment_fixed_size: 128
    .kernarg_segment_align: 8
    .kernarg_segment_size: 36
    .language:       OpenCL C
    .language_version:
      - 2
      - 0
    .max_flat_workgroup_size: 256
    .name:           _ZN7rocprim6detail19block_reduce_kernelILb1ELb1ELj2ENS0_21wrapped_reduce_configINS_14default_configEdEEdPdS5_dNS_4plusIdEEEEvT4_mT5_T6_T7_
    .private_segment_fixed_size: 0
    .sgpr_count:     20
    .sgpr_spill_count: 0
    .symbol:         _ZN7rocprim6detail19block_reduce_kernelILb1ELb1ELj2ENS0_21wrapped_reduce_configINS_14default_configEdEEdPdS5_dNS_4plusIdEEEEvT4_mT5_T6_T7_.kd
    .uniform_work_group_size: 1
    .uses_dynamic_stack: false
    .vgpr_count:     21
    .vgpr_spill_count: 0
    .wavefront_size: 32
    .workgroup_processor_mode: 1
  - .args:
      - .address_space:  global
        .offset:         0
        .size:           8
        .value_kind:     global_buffer
      - .offset:         8
        .size:           8
        .value_kind:     by_value
      - .address_space:  global
        .offset:         16
        .size:           8
        .value_kind:     global_buffer
      - .offset:         24
        .size:           8
        .value_kind:     by_value
      - .offset:         32
        .size:           1
        .value_kind:     by_value
    .group_segment_fixed_size: 128
    .kernarg_segment_align: 8
    .kernarg_segment_size: 36
    .language:       OpenCL C
    .language_version:
      - 2
      - 0
    .max_flat_workgroup_size: 256
    .name:           _ZN7rocprim6detail19block_reduce_kernelILb1ELb1ELj4ENS0_21wrapped_reduce_configINS_14default_configEdEEdPdS5_dNS_4plusIdEEEEvT4_mT5_T6_T7_
    .private_segment_fixed_size: 0
    .sgpr_count:     28
    .sgpr_spill_count: 0
    .symbol:         _ZN7rocprim6detail19block_reduce_kernelILb1ELb1ELj4ENS0_21wrapped_reduce_configINS_14default_configEdEEdPdS5_dNS_4plusIdEEEEvT4_mT5_T6_T7_.kd
    .uniform_work_group_size: 1
    .uses_dynamic_stack: false
    .vgpr_count:     37
    .vgpr_spill_count: 0
    .wavefront_size: 32
    .workgroup_processor_mode: 1
  - .args:
      - .address_space:  global
        .offset:         0
        .size:           8
        .value_kind:     global_buffer
      - .offset:         8
        .size:           8
        .value_kind:     by_value
      - .address_space:  global
        .offset:         16
        .size:           8
        .value_kind:     global_buffer
      - .offset:         24
        .size:           8
        .value_kind:     by_value
      - .offset:         32
        .size:           1
        .value_kind:     by_value
    .group_segment_fixed_size: 128
    .kernarg_segment_align: 8
    .kernarg_segment_size: 36
    .language:       OpenCL C
    .language_version:
      - 2
      - 0
    .max_flat_workgroup_size: 256
    .name:           _ZN7rocprim6detail19block_reduce_kernelILb1ELb1ELj8ENS0_21wrapped_reduce_configINS_14default_configEdEEdPdS5_dNS_4plusIdEEEEvT4_mT5_T6_T7_
    .private_segment_fixed_size: 0
    .sgpr_count:     46
    .sgpr_spill_count: 0
    .symbol:         _ZN7rocprim6detail19block_reduce_kernelILb1ELb1ELj8ENS0_21wrapped_reduce_configINS_14default_configEdEEdPdS5_dNS_4plusIdEEEEvT4_mT5_T6_T7_.kd
    .uniform_work_group_size: 1
    .uses_dynamic_stack: false
    .vgpr_count:     68
    .vgpr_spill_count: 0
    .wavefront_size: 32
    .workgroup_processor_mode: 1
  - .args:
      - .address_space:  global
        .offset:         0
        .size:           8
        .value_kind:     global_buffer
      - .offset:         8
        .size:           8
        .value_kind:     by_value
      - .address_space:  global
        .offset:         16
        .size:           8
        .value_kind:     global_buffer
      - .offset:         24
        .size:           8
        .value_kind:     by_value
      - .offset:         32
        .size:           1
        .value_kind:     by_value
    .group_segment_fixed_size: 128
    .kernarg_segment_align: 8
    .kernarg_segment_size: 36
    .language:       OpenCL C
    .language_version:
      - 2
      - 0
    .max_flat_workgroup_size: 256
    .name:           _ZN7rocprim6detail19block_reduce_kernelILb1ELb1ELj16ENS0_21wrapped_reduce_configINS_14default_configEdEEdPdS5_dNS_4plusIdEEEEvT4_mT5_T6_T7_
    .private_segment_fixed_size: 0
    .sgpr_count:     76
    .sgpr_spill_count: 0
    .symbol:         _ZN7rocprim6detail19block_reduce_kernelILb1ELb1ELj16ENS0_21wrapped_reduce_configINS_14default_configEdEEdPdS5_dNS_4plusIdEEEEvT4_mT5_T6_T7_.kd
    .uniform_work_group_size: 1
    .uses_dynamic_stack: false
    .vgpr_count:     132
    .vgpr_spill_count: 0
    .wavefront_size: 32
    .workgroup_processor_mode: 1
  - .args:
      - .address_space:  global
        .offset:         0
        .size:           8
        .value_kind:     global_buffer
      - .offset:         8
        .size:           8
        .value_kind:     by_value
      - .address_space:  global
        .offset:         16
        .size:           8
        .value_kind:     global_buffer
      - .offset:         24
        .size:           8
        .value_kind:     by_value
      - .offset:         32
        .size:           1
        .value_kind:     by_value
    .group_segment_fixed_size: 128
    .kernarg_segment_align: 8
    .kernarg_segment_size: 36
    .language:       OpenCL C
    .language_version:
      - 2
      - 0
    .max_flat_workgroup_size: 256
    .name:           _ZN7rocprim6detail19block_reduce_kernelILb1ELb0ELj16ENS0_21wrapped_reduce_configINS_14default_configEdEEdPdS5_dNS_4plusIdEEEEvT4_mT5_T6_T7_
    .private_segment_fixed_size: 0
    .sgpr_count:     18
    .sgpr_spill_count: 0
    .symbol:         _ZN7rocprim6detail19block_reduce_kernelILb1ELb0ELj16ENS0_21wrapped_reduce_configINS_14default_configEdEEdPdS5_dNS_4plusIdEEEEvT4_mT5_T6_T7_.kd
    .uniform_work_group_size: 1
    .uses_dynamic_stack: false
    .vgpr_count:     8
    .vgpr_spill_count: 0
    .wavefront_size: 32
    .workgroup_processor_mode: 1
  - .args:
      - .address_space:  global
        .offset:         0
        .size:           8
        .value_kind:     global_buffer
      - .offset:         8
        .size:           8
        .value_kind:     by_value
      - .address_space:  global
        .offset:         16
        .size:           8
        .value_kind:     global_buffer
      - .offset:         24
        .size:           8
        .value_kind:     by_value
      - .offset:         32
        .size:           1
        .value_kind:     by_value
    .group_segment_fixed_size: 128
    .kernarg_segment_align: 8
    .kernarg_segment_size: 36
    .language:       OpenCL C
    .language_version:
      - 2
      - 0
    .max_flat_workgroup_size: 256
    .name:           _ZN7rocprim6detail19block_reduce_kernelILb1ELb0ELj8ENS0_21wrapped_reduce_configINS_14default_configEdEEdPdS5_dNS_4plusIdEEEEvT4_mT5_T6_T7_
    .private_segment_fixed_size: 0
    .sgpr_count:     18
    .sgpr_spill_count: 0
    .symbol:         _ZN7rocprim6detail19block_reduce_kernelILb1ELb0ELj8ENS0_21wrapped_reduce_configINS_14default_configEdEEdPdS5_dNS_4plusIdEEEEvT4_mT5_T6_T7_.kd
    .uniform_work_group_size: 1
    .uses_dynamic_stack: false
    .vgpr_count:     8
    .vgpr_spill_count: 0
    .wavefront_size: 32
    .workgroup_processor_mode: 1
  - .args:
      - .address_space:  global
        .offset:         0
        .size:           8
        .value_kind:     global_buffer
      - .offset:         8
        .size:           8
        .value_kind:     by_value
      - .address_space:  global
        .offset:         16
        .size:           8
        .value_kind:     global_buffer
      - .offset:         24
        .size:           8
        .value_kind:     by_value
      - .offset:         32
        .size:           1
        .value_kind:     by_value
    .group_segment_fixed_size: 128
    .kernarg_segment_align: 8
    .kernarg_segment_size: 36
    .language:       OpenCL C
    .language_version:
      - 2
      - 0
    .max_flat_workgroup_size: 256
    .name:           _ZN7rocprim6detail19block_reduce_kernelILb1ELb0ELj4ENS0_21wrapped_reduce_configINS_14default_configEdEEdPdS5_dNS_4plusIdEEEEvT4_mT5_T6_T7_
    .private_segment_fixed_size: 0
    .sgpr_count:     18
    .sgpr_spill_count: 0
    .symbol:         _ZN7rocprim6detail19block_reduce_kernelILb1ELb0ELj4ENS0_21wrapped_reduce_configINS_14default_configEdEEdPdS5_dNS_4plusIdEEEEvT4_mT5_T6_T7_.kd
    .uniform_work_group_size: 1
    .uses_dynamic_stack: false
    .vgpr_count:     8
    .vgpr_spill_count: 0
    .wavefront_size: 32
    .workgroup_processor_mode: 1
  - .args:
      - .address_space:  global
        .offset:         0
        .size:           8
        .value_kind:     global_buffer
      - .offset:         8
        .size:           8
        .value_kind:     by_value
      - .address_space:  global
        .offset:         16
        .size:           8
        .value_kind:     global_buffer
      - .offset:         24
        .size:           8
        .value_kind:     by_value
      - .offset:         32
        .size:           1
        .value_kind:     by_value
    .group_segment_fixed_size: 128
    .kernarg_segment_align: 8
    .kernarg_segment_size: 36
    .language:       OpenCL C
    .language_version:
      - 2
      - 0
    .max_flat_workgroup_size: 256
    .name:           _ZN7rocprim6detail19block_reduce_kernelILb1ELb0ELj2ENS0_21wrapped_reduce_configINS_14default_configEdEEdPdS5_dNS_4plusIdEEEEvT4_mT5_T6_T7_
    .private_segment_fixed_size: 0
    .sgpr_count:     18
    .sgpr_spill_count: 0
    .symbol:         _ZN7rocprim6detail19block_reduce_kernelILb1ELb0ELj2ENS0_21wrapped_reduce_configINS_14default_configEdEEdPdS5_dNS_4plusIdEEEEvT4_mT5_T6_T7_.kd
    .uniform_work_group_size: 1
    .uses_dynamic_stack: false
    .vgpr_count:     9
    .vgpr_spill_count: 0
    .wavefront_size: 32
    .workgroup_processor_mode: 1
  - .args:
      - .address_space:  global
        .offset:         0
        .size:           8
        .value_kind:     global_buffer
      - .offset:         8
        .size:           8
        .value_kind:     by_value
      - .address_space:  global
        .offset:         16
        .size:           8
        .value_kind:     global_buffer
      - .offset:         24
        .size:           8
        .value_kind:     by_value
      - .offset:         32
        .size:           1
        .value_kind:     by_value
    .group_segment_fixed_size: 128
    .kernarg_segment_align: 8
    .kernarg_segment_size: 36
    .language:       OpenCL C
    .language_version:
      - 2
      - 0
    .max_flat_workgroup_size: 256
    .name:           _ZN7rocprim6detail19block_reduce_kernelILb1ELb0ELj1ENS0_21wrapped_reduce_configINS_14default_configEdEEdPdS5_dNS_4plusIdEEEEvT4_mT5_T6_T7_
    .private_segment_fixed_size: 0
    .sgpr_count:     18
    .sgpr_spill_count: 0
    .symbol:         _ZN7rocprim6detail19block_reduce_kernelILb1ELb0ELj1ENS0_21wrapped_reduce_configINS_14default_configEdEEdPdS5_dNS_4plusIdEEEEvT4_mT5_T6_T7_.kd
    .uniform_work_group_size: 1
    .uses_dynamic_stack: false
    .vgpr_count:     13
    .vgpr_spill_count: 0
    .wavefront_size: 32
    .workgroup_processor_mode: 1
  - .args:
      - .address_space:  global
        .offset:         0
        .size:           8
        .value_kind:     global_buffer
      - .address_space:  global
        .offset:         8
        .size:           8
        .value_kind:     global_buffer
      - .offset:         16
        .size:           8
        .value_kind:     by_value
      - .offset:         24
        .size:           8
        .value_kind:     by_value
      - .offset:         32
        .size:           4
        .value_kind:     hidden_block_count_x
      - .offset:         36
        .size:           4
        .value_kind:     hidden_block_count_y
      - .offset:         40
        .size:           4
        .value_kind:     hidden_block_count_z
      - .offset:         44
        .size:           2
        .value_kind:     hidden_group_size_x
      - .offset:         46
        .size:           2
        .value_kind:     hidden_group_size_y
      - .offset:         48
        .size:           2
        .value_kind:     hidden_group_size_z
      - .offset:         50
        .size:           2
        .value_kind:     hidden_remainder_x
      - .offset:         52
        .size:           2
        .value_kind:     hidden_remainder_y
      - .offset:         54
        .size:           2
        .value_kind:     hidden_remainder_z
      - .offset:         72
        .size:           8
        .value_kind:     hidden_global_offset_x
      - .offset:         80
        .size:           8
        .value_kind:     hidden_global_offset_y
      - .offset:         88
        .size:           8
        .value_kind:     hidden_global_offset_z
      - .offset:         96
        .size:           2
        .value_kind:     hidden_grid_dims
      - .offset:         152
        .size:           4
        .value_kind:     hidden_dynamic_lds_size
    .group_segment_fixed_size: 0
    .kernarg_segment_align: 8
    .kernarg_segment_size: 288
    .language:       OpenCL C
    .language_version:
      - 2
      - 0
    .max_flat_workgroup_size: 256
    .name:           _ZN8rajaperf9algorithm10reduce_sumILm256EEEvPdS2_dl
    .private_segment_fixed_size: 0
    .sgpr_count:     20
    .sgpr_spill_count: 0
    .symbol:         _ZN8rajaperf9algorithm10reduce_sumILm256EEEvPdS2_dl.kd
    .uniform_work_group_size: 1
    .uses_dynamic_stack: false
    .vgpr_count:     10
    .vgpr_spill_count: 0
    .wavefront_size: 32
    .workgroup_processor_mode: 1
  - .args:
      - .offset:         0
        .size:           48
        .value_kind:     by_value
      - .offset:         48
        .size:           8
        .value_kind:     by_value
      - .offset:         56
        .size:           8
        .value_kind:     by_value
      - .offset:         64
        .size:           1
        .value_kind:     by_value
      - .offset:         72
        .size:           4
        .value_kind:     hidden_block_count_x
      - .offset:         76
        .size:           4
        .value_kind:     hidden_block_count_y
      - .offset:         80
        .size:           4
        .value_kind:     hidden_block_count_z
      - .offset:         84
        .size:           2
        .value_kind:     hidden_group_size_x
      - .offset:         86
        .size:           2
        .value_kind:     hidden_group_size_y
      - .offset:         88
        .size:           2
        .value_kind:     hidden_group_size_z
      - .offset:         90
        .size:           2
        .value_kind:     hidden_remainder_x
      - .offset:         92
        .size:           2
        .value_kind:     hidden_remainder_y
      - .offset:         94
        .size:           2
        .value_kind:     hidden_remainder_z
      - .offset:         112
        .size:           8
        .value_kind:     hidden_global_offset_x
      - .offset:         120
        .size:           8
        .value_kind:     hidden_global_offset_y
      - .offset:         128
        .size:           8
        .value_kind:     hidden_global_offset_z
      - .offset:         136
        .size:           2
        .value_kind:     hidden_grid_dims
    .group_segment_fixed_size: 128
    .kernarg_segment_align: 8
    .kernarg_segment_size: 328
    .language:       OpenCL C
    .language_version:
      - 2
      - 0
    .max_flat_workgroup_size: 256
    .name:           _ZN4RAJA6policy3hip4impl18forallp_hip_kernelINS1_8hip_execINS_17iteration_mapping6DirectENS_3hip11IndexGlobalILNS_9named_dimE0ELi256ELi0EEENS7_40AvoidDeviceMaxThreadOccupancyConcretizerINS7_34FractionOffsetOccupancyConcretizerINS_8FractionImLm1ELm1EEELln1EEEEELb1EEENS_9Iterators16numeric_iteratorIllPlEEZN8rajaperf9algorithm10REDUCE_SUM17runHipVariantRAJAILm256ENSM_13gpu_algorithm19block_atomic_helperENSM_11gpu_mapping20global_direct_helperEEEvNSM_9VariantIDEEUllE_lNS_4expt15ForallParamPackIJEEES6_SA_TnNSt9enable_ifIXaasr3std10is_base_ofINS5_10DirectBaseET4_EE5valuegtsrT5_10block_sizeLi0EEmE4typeELm256EEEvT1_T0_T2_T3_
    .private_segment_fixed_size: 0
    .sgpr_count:     20
    .sgpr_spill_count: 0
    .symbol:         _ZN4RAJA6policy3hip4impl18forallp_hip_kernelINS1_8hip_execINS_17iteration_mapping6DirectENS_3hip11IndexGlobalILNS_9named_dimE0ELi256ELi0EEENS7_40AvoidDeviceMaxThreadOccupancyConcretizerINS7_34FractionOffsetOccupancyConcretizerINS_8FractionImLm1ELm1EEELln1EEEEELb1EEENS_9Iterators16numeric_iteratorIllPlEEZN8rajaperf9algorithm10REDUCE_SUM17runHipVariantRAJAILm256ENSM_13gpu_algorithm19block_atomic_helperENSM_11gpu_mapping20global_direct_helperEEEvNSM_9VariantIDEEUllE_lNS_4expt15ForallParamPackIJEEES6_SA_TnNSt9enable_ifIXaasr3std10is_base_ofINS5_10DirectBaseET4_EE5valuegtsrT5_10block_sizeLi0EEmE4typeELm256EEEvT1_T0_T2_T3_.kd
    .uniform_work_group_size: 1
    .uses_dynamic_stack: false
    .vgpr_count:     14
    .vgpr_spill_count: 0
    .wavefront_size: 32
    .workgroup_processor_mode: 1
  - .args:
      - .offset:         0
        .size:           64
        .value_kind:     by_value
      - .offset:         64
        .size:           8
        .value_kind:     by_value
      - .offset:         72
        .size:           8
        .value_kind:     by_value
      - .offset:         80
        .size:           1
        .value_kind:     by_value
      - .offset:         88
        .size:           4
        .value_kind:     hidden_block_count_x
      - .offset:         92
        .size:           4
        .value_kind:     hidden_block_count_y
      - .offset:         96
        .size:           4
        .value_kind:     hidden_block_count_z
      - .offset:         100
        .size:           2
        .value_kind:     hidden_group_size_x
      - .offset:         102
        .size:           2
        .value_kind:     hidden_group_size_y
      - .offset:         104
        .size:           2
        .value_kind:     hidden_group_size_z
      - .offset:         106
        .size:           2
        .value_kind:     hidden_remainder_x
      - .offset:         108
        .size:           2
        .value_kind:     hidden_remainder_y
      - .offset:         110
        .size:           2
        .value_kind:     hidden_remainder_z
      - .offset:         128
        .size:           8
        .value_kind:     hidden_global_offset_x
      - .offset:         136
        .size:           8
        .value_kind:     hidden_global_offset_y
      - .offset:         144
        .size:           8
        .value_kind:     hidden_global_offset_z
      - .offset:         152
        .size:           2
        .value_kind:     hidden_grid_dims
    .group_segment_fixed_size: 129
    .kernarg_segment_align: 8
    .kernarg_segment_size: 344
    .language:       OpenCL C
    .language_version:
      - 2
      - 0
    .max_flat_workgroup_size: 256
    .name:           _ZN4RAJA6policy3hip4impl18forallp_hip_kernelINS1_8hip_execINS_17iteration_mapping6DirectENS_3hip11IndexGlobalILNS_9named_dimE0ELi256ELi0EEENS7_40AvoidDeviceMaxThreadOccupancyConcretizerINS7_34FractionOffsetOccupancyConcretizerINS_8FractionImLm1ELm1EEELln1EEEEELb1EEENS_9Iterators16numeric_iteratorIllPlEEZN8rajaperf9algorithm10REDUCE_SUM17runHipVariantRAJAILm256ENSM_13gpu_algorithm19block_device_helperENSM_11gpu_mapping20global_direct_helperEEEvNSM_9VariantIDEEUllE_lNS_4expt15ForallParamPackIJEEES6_SA_TnNSt9enable_ifIXaasr3std10is_base_ofINS5_10DirectBaseET4_EE5valuegtsrT5_10block_sizeLi0EEmE4typeELm256EEEvT1_T0_T2_T3_
    .private_segment_fixed_size: 0
    .sgpr_count:     24
    .sgpr_spill_count: 0
    .symbol:         _ZN4RAJA6policy3hip4impl18forallp_hip_kernelINS1_8hip_execINS_17iteration_mapping6DirectENS_3hip11IndexGlobalILNS_9named_dimE0ELi256ELi0EEENS7_40AvoidDeviceMaxThreadOccupancyConcretizerINS7_34FractionOffsetOccupancyConcretizerINS_8FractionImLm1ELm1EEELln1EEEEELb1EEENS_9Iterators16numeric_iteratorIllPlEEZN8rajaperf9algorithm10REDUCE_SUM17runHipVariantRAJAILm256ENSM_13gpu_algorithm19block_device_helperENSM_11gpu_mapping20global_direct_helperEEEvNSM_9VariantIDEEUllE_lNS_4expt15ForallParamPackIJEEES6_SA_TnNSt9enable_ifIXaasr3std10is_base_ofINS5_10DirectBaseET4_EE5valuegtsrT5_10block_sizeLi0EEmE4typeELm256EEEvT1_T0_T2_T3_.kd
    .uniform_work_group_size: 1
    .uses_dynamic_stack: false
    .vgpr_count:     21
    .vgpr_spill_count: 0
    .wavefront_size: 32
    .workgroup_processor_mode: 1
  - .args:
      - .address_space:  global
        .offset:         0
        .size:           8
        .value_kind:     global_buffer
      - .offset:         8
        .size:           8
        .value_kind:     by_value
      - .offset:         16
        .size:           8
        .value_kind:     by_value
      - .offset:         24
        .size:           40
        .value_kind:     by_value
      - .offset:         64
        .size:           4
        .value_kind:     hidden_block_count_x
      - .offset:         68
        .size:           4
        .value_kind:     hidden_block_count_y
      - .offset:         72
        .size:           4
        .value_kind:     hidden_block_count_z
      - .offset:         76
        .size:           2
        .value_kind:     hidden_group_size_x
      - .offset:         78
        .size:           2
        .value_kind:     hidden_group_size_y
      - .offset:         80
        .size:           2
        .value_kind:     hidden_group_size_z
      - .offset:         82
        .size:           2
        .value_kind:     hidden_remainder_x
      - .offset:         84
        .size:           2
        .value_kind:     hidden_remainder_y
      - .offset:         86
        .size:           2
        .value_kind:     hidden_remainder_z
      - .offset:         104
        .size:           8
        .value_kind:     hidden_global_offset_x
      - .offset:         112
        .size:           8
        .value_kind:     hidden_global_offset_y
      - .offset:         120
        .size:           8
        .value_kind:     hidden_global_offset_z
      - .offset:         128
        .size:           2
        .value_kind:     hidden_grid_dims
    .group_segment_fixed_size: 384
    .kernarg_segment_align: 8
    .kernarg_segment_size: 320
    .language:       OpenCL C
    .language_version:
      - 2
      - 0
    .max_flat_workgroup_size: 256
    .name:           _ZN4RAJA6policy3hip4impl18forallp_hip_kernelINS1_8hip_execINS_17iteration_mapping6DirectENS_3hip11IndexGlobalILNS_9named_dimE0ELi256ELi0EEENS7_40AvoidDeviceMaxThreadOccupancyConcretizerINS7_34FractionOffsetOccupancyConcretizerINS_8FractionImLm1ELm1EEELln1EEEEELb1EEENS_9Iterators16numeric_iteratorIllPlEEZN8rajaperf9algorithm10REDUCE_SUM26runHipVariantRAJANewReduceILm256ENSM_11gpu_mapping20global_direct_helperEEEvNSM_9VariantIDEEUllRNS_4expt5ValOpIdNS_9operators4plusEEEE_lNST_15ForallParamPackIJNST_6detail7ReducerINSW_IdddEEdSX_EEEEES6_SA_TnNSt9enable_ifIXaasr3std10is_base_ofINS5_10DirectBaseET4_EE5valuegtsrT5_10block_sizeLi0EEmE4typeELm256EEEvT1_T0_T2_T3_
    .private_segment_fixed_size: 0
    .sgpr_count:     18
    .sgpr_spill_count: 0
    .symbol:         _ZN4RAJA6policy3hip4impl18forallp_hip_kernelINS1_8hip_execINS_17iteration_mapping6DirectENS_3hip11IndexGlobalILNS_9named_dimE0ELi256ELi0EEENS7_40AvoidDeviceMaxThreadOccupancyConcretizerINS7_34FractionOffsetOccupancyConcretizerINS_8FractionImLm1ELm1EEELln1EEEEELb1EEENS_9Iterators16numeric_iteratorIllPlEEZN8rajaperf9algorithm10REDUCE_SUM26runHipVariantRAJANewReduceILm256ENSM_11gpu_mapping20global_direct_helperEEEvNSM_9VariantIDEEUllRNS_4expt5ValOpIdNS_9operators4plusEEEE_lNST_15ForallParamPackIJNST_6detail7ReducerINSW_IdddEEdSX_EEEEES6_SA_TnNSt9enable_ifIXaasr3std10is_base_ofINS5_10DirectBaseET4_EE5valuegtsrT5_10block_sizeLi0EEmE4typeELm256EEEvT1_T0_T2_T3_.kd
    .uniform_work_group_size: 1
    .uses_dynamic_stack: false
    .vgpr_count:     17
    .vgpr_spill_count: 0
    .wavefront_size: 32
    .workgroup_processor_mode: 1
  - .args:
      - .offset:         0
        .size:           48
        .value_kind:     by_value
      - .offset:         48
        .size:           8
        .value_kind:     by_value
      - .offset:         56
        .size:           8
        .value_kind:     by_value
      - .offset:         64
        .size:           1
        .value_kind:     by_value
      - .offset:         72
        .size:           4
        .value_kind:     hidden_block_count_x
      - .offset:         76
        .size:           4
        .value_kind:     hidden_block_count_y
      - .offset:         80
        .size:           4
        .value_kind:     hidden_block_count_z
      - .offset:         84
        .size:           2
        .value_kind:     hidden_group_size_x
      - .offset:         86
        .size:           2
        .value_kind:     hidden_group_size_y
      - .offset:         88
        .size:           2
        .value_kind:     hidden_group_size_z
      - .offset:         90
        .size:           2
        .value_kind:     hidden_remainder_x
      - .offset:         92
        .size:           2
        .value_kind:     hidden_remainder_y
      - .offset:         94
        .size:           2
        .value_kind:     hidden_remainder_z
      - .offset:         112
        .size:           8
        .value_kind:     hidden_global_offset_x
      - .offset:         120
        .size:           8
        .value_kind:     hidden_global_offset_y
      - .offset:         128
        .size:           8
        .value_kind:     hidden_global_offset_z
      - .offset:         136
        .size:           2
        .value_kind:     hidden_grid_dims
    .group_segment_fixed_size: 128
    .kernarg_segment_align: 8
    .kernarg_segment_size: 328
    .language:       OpenCL C
    .language_version:
      - 2
      - 0
    .max_flat_workgroup_size: 256
    .name:           _ZN4RAJA6policy3hip4impl18forallp_hip_kernelINS1_8hip_execINS_17iteration_mapping11StridedLoopILm0EEENS_3hip11IndexGlobalILNS_9named_dimE0ELi256ELi0EEENS8_40AvoidDeviceMaxThreadOccupancyConcretizerINS8_34FractionOffsetOccupancyConcretizerINS_8FractionImLm1ELm1EEELln1EEEEELb1EEENS_9Iterators16numeric_iteratorIllPlEEZN8rajaperf9algorithm10REDUCE_SUM17runHipVariantRAJAILm256ENSN_13gpu_algorithm19block_atomic_helperENSN_11gpu_mapping40global_loop_occupancy_grid_stride_helperEEEvNSN_9VariantIDEEUllE_lNS_4expt15ForallParamPackIJEEES7_SB_TnNSt9enable_ifIXaaaasr3std10is_base_ofINS5_15StridedLoopBaseET4_EE5valuesr3std10is_base_ofINS5_15UnsizedLoopBaseES12_EE5valuegtsrT5_10block_sizeLi0EEmE4typeELm256EEEvT1_T0_T2_T3_
    .private_segment_fixed_size: 0
    .sgpr_count:     24
    .sgpr_spill_count: 0
    .symbol:         _ZN4RAJA6policy3hip4impl18forallp_hip_kernelINS1_8hip_execINS_17iteration_mapping11StridedLoopILm0EEENS_3hip11IndexGlobalILNS_9named_dimE0ELi256ELi0EEENS8_40AvoidDeviceMaxThreadOccupancyConcretizerINS8_34FractionOffsetOccupancyConcretizerINS_8FractionImLm1ELm1EEELln1EEEEELb1EEENS_9Iterators16numeric_iteratorIllPlEEZN8rajaperf9algorithm10REDUCE_SUM17runHipVariantRAJAILm256ENSN_13gpu_algorithm19block_atomic_helperENSN_11gpu_mapping40global_loop_occupancy_grid_stride_helperEEEvNSN_9VariantIDEEUllE_lNS_4expt15ForallParamPackIJEEES7_SB_TnNSt9enable_ifIXaaaasr3std10is_base_ofINS5_15StridedLoopBaseET4_EE5valuesr3std10is_base_ofINS5_15UnsizedLoopBaseES12_EE5valuegtsrT5_10block_sizeLi0EEmE4typeELm256EEEvT1_T0_T2_T3_.kd
    .uniform_work_group_size: 1
    .uses_dynamic_stack: false
    .vgpr_count:     14
    .vgpr_spill_count: 0
    .wavefront_size: 32
    .workgroup_processor_mode: 1
  - .args:
      - .offset:         0
        .size:           64
        .value_kind:     by_value
      - .offset:         64
        .size:           8
        .value_kind:     by_value
      - .offset:         72
        .size:           8
        .value_kind:     by_value
      - .offset:         80
        .size:           1
        .value_kind:     by_value
      - .offset:         88
        .size:           4
        .value_kind:     hidden_block_count_x
      - .offset:         92
        .size:           4
        .value_kind:     hidden_block_count_y
      - .offset:         96
        .size:           4
        .value_kind:     hidden_block_count_z
      - .offset:         100
        .size:           2
        .value_kind:     hidden_group_size_x
      - .offset:         102
        .size:           2
        .value_kind:     hidden_group_size_y
      - .offset:         104
        .size:           2
        .value_kind:     hidden_group_size_z
      - .offset:         106
        .size:           2
        .value_kind:     hidden_remainder_x
      - .offset:         108
        .size:           2
        .value_kind:     hidden_remainder_y
      - .offset:         110
        .size:           2
        .value_kind:     hidden_remainder_z
      - .offset:         128
        .size:           8
        .value_kind:     hidden_global_offset_x
      - .offset:         136
        .size:           8
        .value_kind:     hidden_global_offset_y
      - .offset:         144
        .size:           8
        .value_kind:     hidden_global_offset_z
      - .offset:         152
        .size:           2
        .value_kind:     hidden_grid_dims
    .group_segment_fixed_size: 129
    .kernarg_segment_align: 8
    .kernarg_segment_size: 344
    .language:       OpenCL C
    .language_version:
      - 2
      - 0
    .max_flat_workgroup_size: 256
    .name:           _ZN4RAJA6policy3hip4impl18forallp_hip_kernelINS1_8hip_execINS_17iteration_mapping11StridedLoopILm0EEENS_3hip11IndexGlobalILNS_9named_dimE0ELi256ELi0EEENS8_40AvoidDeviceMaxThreadOccupancyConcretizerINS8_34FractionOffsetOccupancyConcretizerINS_8FractionImLm1ELm1EEELln1EEEEELb1EEENS_9Iterators16numeric_iteratorIllPlEEZN8rajaperf9algorithm10REDUCE_SUM17runHipVariantRAJAILm256ENSN_13gpu_algorithm19block_device_helperENSN_11gpu_mapping40global_loop_occupancy_grid_stride_helperEEEvNSN_9VariantIDEEUllE_lNS_4expt15ForallParamPackIJEEES7_SB_TnNSt9enable_ifIXaaaasr3std10is_base_ofINS5_15StridedLoopBaseET4_EE5valuesr3std10is_base_ofINS5_15UnsizedLoopBaseES12_EE5valuegtsrT5_10block_sizeLi0EEmE4typeELm256EEEvT1_T0_T2_T3_
    .private_segment_fixed_size: 0
    .sgpr_count:     28
    .sgpr_spill_count: 0
    .symbol:         _ZN4RAJA6policy3hip4impl18forallp_hip_kernelINS1_8hip_execINS_17iteration_mapping11StridedLoopILm0EEENS_3hip11IndexGlobalILNS_9named_dimE0ELi256ELi0EEENS8_40AvoidDeviceMaxThreadOccupancyConcretizerINS8_34FractionOffsetOccupancyConcretizerINS_8FractionImLm1ELm1EEELln1EEEEELb1EEENS_9Iterators16numeric_iteratorIllPlEEZN8rajaperf9algorithm10REDUCE_SUM17runHipVariantRAJAILm256ENSN_13gpu_algorithm19block_device_helperENSN_11gpu_mapping40global_loop_occupancy_grid_stride_helperEEEvNSN_9VariantIDEEUllE_lNS_4expt15ForallParamPackIJEEES7_SB_TnNSt9enable_ifIXaaaasr3std10is_base_ofINS5_15StridedLoopBaseET4_EE5valuesr3std10is_base_ofINS5_15UnsizedLoopBaseES12_EE5valuegtsrT5_10block_sizeLi0EEmE4typeELm256EEEvT1_T0_T2_T3_.kd
    .uniform_work_group_size: 1
    .uses_dynamic_stack: false
    .vgpr_count:     21
    .vgpr_spill_count: 0
    .wavefront_size: 32
    .workgroup_processor_mode: 1
  - .args:
      - .address_space:  global
        .offset:         0
        .size:           8
        .value_kind:     global_buffer
      - .offset:         8
        .size:           8
        .value_kind:     by_value
      - .offset:         16
        .size:           8
        .value_kind:     by_value
      - .offset:         24
        .size:           40
        .value_kind:     by_value
      - .offset:         64
        .size:           4
        .value_kind:     hidden_block_count_x
      - .offset:         68
        .size:           4
        .value_kind:     hidden_block_count_y
      - .offset:         72
        .size:           4
        .value_kind:     hidden_block_count_z
      - .offset:         76
        .size:           2
        .value_kind:     hidden_group_size_x
      - .offset:         78
        .size:           2
        .value_kind:     hidden_group_size_y
      - .offset:         80
        .size:           2
        .value_kind:     hidden_group_size_z
      - .offset:         82
        .size:           2
        .value_kind:     hidden_remainder_x
      - .offset:         84
        .size:           2
        .value_kind:     hidden_remainder_y
      - .offset:         86
        .size:           2
        .value_kind:     hidden_remainder_z
      - .offset:         104
        .size:           8
        .value_kind:     hidden_global_offset_x
      - .offset:         112
        .size:           8
        .value_kind:     hidden_global_offset_y
      - .offset:         120
        .size:           8
        .value_kind:     hidden_global_offset_z
      - .offset:         128
        .size:           2
        .value_kind:     hidden_grid_dims
    .group_segment_fixed_size: 384
    .kernarg_segment_align: 8
    .kernarg_segment_size: 320
    .language:       OpenCL C
    .language_version:
      - 2
      - 0
    .max_flat_workgroup_size: 256
    .name:           _ZN4RAJA6policy3hip4impl18forallp_hip_kernelINS1_8hip_execINS_17iteration_mapping11StridedLoopILm0EEENS_3hip11IndexGlobalILNS_9named_dimE0ELi256ELi0EEENS8_40AvoidDeviceMaxThreadOccupancyConcretizerINS8_34FractionOffsetOccupancyConcretizerINS_8FractionImLm1ELm1EEELln1EEEEELb1EEENS_9Iterators16numeric_iteratorIllPlEEZN8rajaperf9algorithm10REDUCE_SUM26runHipVariantRAJANewReduceILm256ENSN_11gpu_mapping40global_loop_occupancy_grid_stride_helperEEEvNSN_9VariantIDEEUllRNS_4expt5ValOpIdNS_9operators4plusEEEE_lNSU_15ForallParamPackIJNSU_6detail7ReducerINSX_IdddEEdSY_EEEEES7_SB_TnNSt9enable_ifIXaaaasr3std10is_base_ofINS5_15StridedLoopBaseET4_EE5valuesr3std10is_base_ofINS5_15UnsizedLoopBaseES19_EE5valuegtsrT5_10block_sizeLi0EEmE4typeELm256EEEvT1_T0_T2_T3_
    .private_segment_fixed_size: 0
    .sgpr_count:     28
    .sgpr_spill_count: 0
    .symbol:         _ZN4RAJA6policy3hip4impl18forallp_hip_kernelINS1_8hip_execINS_17iteration_mapping11StridedLoopILm0EEENS_3hip11IndexGlobalILNS_9named_dimE0ELi256ELi0EEENS8_40AvoidDeviceMaxThreadOccupancyConcretizerINS8_34FractionOffsetOccupancyConcretizerINS_8FractionImLm1ELm1EEELln1EEEEELb1EEENS_9Iterators16numeric_iteratorIllPlEEZN8rajaperf9algorithm10REDUCE_SUM26runHipVariantRAJANewReduceILm256ENSN_11gpu_mapping40global_loop_occupancy_grid_stride_helperEEEvNSN_9VariantIDEEUllRNS_4expt5ValOpIdNS_9operators4plusEEEE_lNSU_15ForallParamPackIJNSU_6detail7ReducerINSX_IdddEEdSY_EEEEES7_SB_TnNSt9enable_ifIXaaaasr3std10is_base_ofINS5_15StridedLoopBaseET4_EE5valuesr3std10is_base_ofINS5_15UnsizedLoopBaseES19_EE5valuegtsrT5_10block_sizeLi0EEmE4typeELm256EEEvT1_T0_T2_T3_.kd
    .uniform_work_group_size: 1
    .uses_dynamic_stack: false
    .vgpr_count:     17
    .vgpr_spill_count: 0
    .wavefront_size: 32
    .workgroup_processor_mode: 1
amdhsa.target:   amdgcn-amd-amdhsa--gfx1100
amdhsa.version:
  - 1
  - 2
...

	.end_amdgpu_metadata
